;; amdgpu-corpus repo=ROCm/rocFFT kind=compiled arch=gfx1100 opt=O3
	.text
	.amdgcn_target "amdgcn-amd-amdhsa--gfx1100"
	.amdhsa_code_object_version 6
	.protected	fft_rtc_fwd_len3200_factors_10_10_4_4_2_wgs_160_tpt_160_halfLds_dp_ip_CI_sbrr_dirReg ; -- Begin function fft_rtc_fwd_len3200_factors_10_10_4_4_2_wgs_160_tpt_160_halfLds_dp_ip_CI_sbrr_dirReg
	.globl	fft_rtc_fwd_len3200_factors_10_10_4_4_2_wgs_160_tpt_160_halfLds_dp_ip_CI_sbrr_dirReg
	.p2align	8
	.type	fft_rtc_fwd_len3200_factors_10_10_4_4_2_wgs_160_tpt_160_halfLds_dp_ip_CI_sbrr_dirReg,@function
fft_rtc_fwd_len3200_factors_10_10_4_4_2_wgs_160_tpt_160_halfLds_dp_ip_CI_sbrr_dirReg: ; @fft_rtc_fwd_len3200_factors_10_10_4_4_2_wgs_160_tpt_160_halfLds_dp_ip_CI_sbrr_dirReg
; %bb.0:
	s_clause 0x2
	s_load_b64 s[12:13], s[0:1], 0x18
	s_load_b128 s[4:7], s[0:1], 0x0
	s_load_b64 s[10:11], s[0:1], 0x50
	v_mul_u32_u24_e32 v1, 0x19a, v0
	v_mov_b32_e32 v3, 0
	v_mov_b32_e32 v4, 0
	s_delay_alu instid0(VALU_DEP_3) | instskip(SKIP_1) | instid1(VALU_DEP_1)
	v_lshrrev_b32_e32 v2, 16, v1
	v_mov_b32_e32 v1, 0
	v_dual_mov_b32 v6, v1 :: v_dual_add_nc_u32 v5, s15, v2
	s_waitcnt lgkmcnt(0)
	s_load_b64 s[8:9], s[12:13], 0x0
	v_cmp_lt_u64_e64 s2, s[6:7], 2
	s_delay_alu instid0(VALU_DEP_1)
	s_and_b32 vcc_lo, exec_lo, s2
	s_cbranch_vccnz .LBB0_8
; %bb.1:
	s_load_b64 s[2:3], s[0:1], 0x10
	v_mov_b32_e32 v3, 0
	s_add_u32 s14, s12, 8
	v_mov_b32_e32 v4, 0
	s_addc_u32 s15, s13, 0
	s_mov_b64 s[18:19], 1
	s_waitcnt lgkmcnt(0)
	s_add_u32 s16, s2, 8
	s_addc_u32 s17, s3, 0
.LBB0_2:                                ; =>This Inner Loop Header: Depth=1
	s_load_b64 s[20:21], s[16:17], 0x0
                                        ; implicit-def: $vgpr7_vgpr8
	s_mov_b32 s2, exec_lo
	s_waitcnt lgkmcnt(0)
	v_or_b32_e32 v2, s21, v6
	s_delay_alu instid0(VALU_DEP_1)
	v_cmpx_ne_u64_e32 0, v[1:2]
	s_xor_b32 s3, exec_lo, s2
	s_cbranch_execz .LBB0_4
; %bb.3:                                ;   in Loop: Header=BB0_2 Depth=1
	v_cvt_f32_u32_e32 v2, s20
	v_cvt_f32_u32_e32 v7, s21
	s_sub_u32 s2, 0, s20
	s_subb_u32 s22, 0, s21
	s_delay_alu instid0(VALU_DEP_1) | instskip(NEXT) | instid1(VALU_DEP_1)
	v_fmac_f32_e32 v2, 0x4f800000, v7
	v_rcp_f32_e32 v2, v2
	s_waitcnt_depctr 0xfff
	v_mul_f32_e32 v2, 0x5f7ffffc, v2
	s_delay_alu instid0(VALU_DEP_1) | instskip(NEXT) | instid1(VALU_DEP_1)
	v_mul_f32_e32 v7, 0x2f800000, v2
	v_trunc_f32_e32 v7, v7
	s_delay_alu instid0(VALU_DEP_1) | instskip(SKIP_1) | instid1(VALU_DEP_2)
	v_fmac_f32_e32 v2, 0xcf800000, v7
	v_cvt_u32_f32_e32 v7, v7
	v_cvt_u32_f32_e32 v2, v2
	s_delay_alu instid0(VALU_DEP_2) | instskip(NEXT) | instid1(VALU_DEP_2)
	v_mul_lo_u32 v8, s2, v7
	v_mul_hi_u32 v9, s2, v2
	v_mul_lo_u32 v10, s22, v2
	s_delay_alu instid0(VALU_DEP_2) | instskip(SKIP_1) | instid1(VALU_DEP_2)
	v_add_nc_u32_e32 v8, v9, v8
	v_mul_lo_u32 v9, s2, v2
	v_add_nc_u32_e32 v8, v8, v10
	s_delay_alu instid0(VALU_DEP_2) | instskip(NEXT) | instid1(VALU_DEP_2)
	v_mul_hi_u32 v10, v2, v9
	v_mul_lo_u32 v11, v2, v8
	v_mul_hi_u32 v12, v2, v8
	v_mul_hi_u32 v13, v7, v9
	v_mul_lo_u32 v9, v7, v9
	v_mul_hi_u32 v14, v7, v8
	v_mul_lo_u32 v8, v7, v8
	v_add_co_u32 v10, vcc_lo, v10, v11
	v_add_co_ci_u32_e32 v11, vcc_lo, 0, v12, vcc_lo
	s_delay_alu instid0(VALU_DEP_2) | instskip(NEXT) | instid1(VALU_DEP_2)
	v_add_co_u32 v9, vcc_lo, v10, v9
	v_add_co_ci_u32_e32 v9, vcc_lo, v11, v13, vcc_lo
	v_add_co_ci_u32_e32 v10, vcc_lo, 0, v14, vcc_lo
	s_delay_alu instid0(VALU_DEP_2) | instskip(NEXT) | instid1(VALU_DEP_2)
	v_add_co_u32 v8, vcc_lo, v9, v8
	v_add_co_ci_u32_e32 v9, vcc_lo, 0, v10, vcc_lo
	s_delay_alu instid0(VALU_DEP_2) | instskip(NEXT) | instid1(VALU_DEP_2)
	v_add_co_u32 v2, vcc_lo, v2, v8
	v_add_co_ci_u32_e32 v7, vcc_lo, v7, v9, vcc_lo
	s_delay_alu instid0(VALU_DEP_2) | instskip(SKIP_1) | instid1(VALU_DEP_3)
	v_mul_hi_u32 v8, s2, v2
	v_mul_lo_u32 v10, s22, v2
	v_mul_lo_u32 v9, s2, v7
	s_delay_alu instid0(VALU_DEP_1) | instskip(SKIP_1) | instid1(VALU_DEP_2)
	v_add_nc_u32_e32 v8, v8, v9
	v_mul_lo_u32 v9, s2, v2
	v_add_nc_u32_e32 v8, v8, v10
	s_delay_alu instid0(VALU_DEP_2) | instskip(NEXT) | instid1(VALU_DEP_2)
	v_mul_hi_u32 v10, v2, v9
	v_mul_lo_u32 v11, v2, v8
	v_mul_hi_u32 v12, v2, v8
	v_mul_hi_u32 v13, v7, v9
	v_mul_lo_u32 v9, v7, v9
	v_mul_hi_u32 v14, v7, v8
	v_mul_lo_u32 v8, v7, v8
	v_add_co_u32 v10, vcc_lo, v10, v11
	v_add_co_ci_u32_e32 v11, vcc_lo, 0, v12, vcc_lo
	s_delay_alu instid0(VALU_DEP_2) | instskip(NEXT) | instid1(VALU_DEP_2)
	v_add_co_u32 v9, vcc_lo, v10, v9
	v_add_co_ci_u32_e32 v9, vcc_lo, v11, v13, vcc_lo
	v_add_co_ci_u32_e32 v10, vcc_lo, 0, v14, vcc_lo
	s_delay_alu instid0(VALU_DEP_2) | instskip(NEXT) | instid1(VALU_DEP_2)
	v_add_co_u32 v8, vcc_lo, v9, v8
	v_add_co_ci_u32_e32 v9, vcc_lo, 0, v10, vcc_lo
	s_delay_alu instid0(VALU_DEP_2) | instskip(NEXT) | instid1(VALU_DEP_2)
	v_add_co_u32 v2, vcc_lo, v2, v8
	v_add_co_ci_u32_e32 v13, vcc_lo, v7, v9, vcc_lo
	s_delay_alu instid0(VALU_DEP_2) | instskip(SKIP_1) | instid1(VALU_DEP_3)
	v_mul_hi_u32 v14, v5, v2
	v_mad_u64_u32 v[9:10], null, v6, v2, 0
	v_mad_u64_u32 v[7:8], null, v5, v13, 0
	;; [unrolled: 1-line block ×3, first 2 shown]
	s_delay_alu instid0(VALU_DEP_2) | instskip(NEXT) | instid1(VALU_DEP_3)
	v_add_co_u32 v2, vcc_lo, v14, v7
	v_add_co_ci_u32_e32 v7, vcc_lo, 0, v8, vcc_lo
	s_delay_alu instid0(VALU_DEP_2) | instskip(NEXT) | instid1(VALU_DEP_2)
	v_add_co_u32 v2, vcc_lo, v2, v9
	v_add_co_ci_u32_e32 v2, vcc_lo, v7, v10, vcc_lo
	v_add_co_ci_u32_e32 v7, vcc_lo, 0, v12, vcc_lo
	s_delay_alu instid0(VALU_DEP_2) | instskip(NEXT) | instid1(VALU_DEP_2)
	v_add_co_u32 v2, vcc_lo, v2, v11
	v_add_co_ci_u32_e32 v9, vcc_lo, 0, v7, vcc_lo
	s_delay_alu instid0(VALU_DEP_2) | instskip(SKIP_1) | instid1(VALU_DEP_3)
	v_mul_lo_u32 v10, s21, v2
	v_mad_u64_u32 v[7:8], null, s20, v2, 0
	v_mul_lo_u32 v11, s20, v9
	s_delay_alu instid0(VALU_DEP_2) | instskip(NEXT) | instid1(VALU_DEP_2)
	v_sub_co_u32 v7, vcc_lo, v5, v7
	v_add3_u32 v8, v8, v11, v10
	s_delay_alu instid0(VALU_DEP_1) | instskip(NEXT) | instid1(VALU_DEP_1)
	v_sub_nc_u32_e32 v10, v6, v8
	v_subrev_co_ci_u32_e64 v10, s2, s21, v10, vcc_lo
	v_add_co_u32 v11, s2, v2, 2
	s_delay_alu instid0(VALU_DEP_1) | instskip(SKIP_3) | instid1(VALU_DEP_3)
	v_add_co_ci_u32_e64 v12, s2, 0, v9, s2
	v_sub_co_u32 v13, s2, v7, s20
	v_sub_co_ci_u32_e32 v8, vcc_lo, v6, v8, vcc_lo
	v_subrev_co_ci_u32_e64 v10, s2, 0, v10, s2
	v_cmp_le_u32_e32 vcc_lo, s20, v13
	s_delay_alu instid0(VALU_DEP_3) | instskip(SKIP_1) | instid1(VALU_DEP_4)
	v_cmp_eq_u32_e64 s2, s21, v8
	v_cndmask_b32_e64 v13, 0, -1, vcc_lo
	v_cmp_le_u32_e32 vcc_lo, s21, v10
	v_cndmask_b32_e64 v14, 0, -1, vcc_lo
	v_cmp_le_u32_e32 vcc_lo, s20, v7
	;; [unrolled: 2-line block ×3, first 2 shown]
	v_cndmask_b32_e64 v15, 0, -1, vcc_lo
	v_cmp_eq_u32_e32 vcc_lo, s21, v10
	s_delay_alu instid0(VALU_DEP_2) | instskip(SKIP_3) | instid1(VALU_DEP_3)
	v_cndmask_b32_e64 v7, v15, v7, s2
	v_cndmask_b32_e32 v10, v14, v13, vcc_lo
	v_add_co_u32 v13, vcc_lo, v2, 1
	v_add_co_ci_u32_e32 v14, vcc_lo, 0, v9, vcc_lo
	v_cmp_ne_u32_e32 vcc_lo, 0, v10
	s_delay_alu instid0(VALU_DEP_2) | instskip(NEXT) | instid1(VALU_DEP_4)
	v_cndmask_b32_e32 v8, v14, v12, vcc_lo
	v_cndmask_b32_e32 v10, v13, v11, vcc_lo
	v_cmp_ne_u32_e32 vcc_lo, 0, v7
	s_delay_alu instid0(VALU_DEP_2)
	v_dual_cndmask_b32 v7, v2, v10 :: v_dual_cndmask_b32 v8, v9, v8
.LBB0_4:                                ;   in Loop: Header=BB0_2 Depth=1
	s_and_not1_saveexec_b32 s2, s3
	s_cbranch_execz .LBB0_6
; %bb.5:                                ;   in Loop: Header=BB0_2 Depth=1
	v_cvt_f32_u32_e32 v2, s20
	s_sub_i32 s3, 0, s20
	s_delay_alu instid0(VALU_DEP_1) | instskip(SKIP_2) | instid1(VALU_DEP_1)
	v_rcp_iflag_f32_e32 v2, v2
	s_waitcnt_depctr 0xfff
	v_mul_f32_e32 v2, 0x4f7ffffe, v2
	v_cvt_u32_f32_e32 v2, v2
	s_delay_alu instid0(VALU_DEP_1) | instskip(NEXT) | instid1(VALU_DEP_1)
	v_mul_lo_u32 v7, s3, v2
	v_mul_hi_u32 v7, v2, v7
	s_delay_alu instid0(VALU_DEP_1) | instskip(NEXT) | instid1(VALU_DEP_1)
	v_add_nc_u32_e32 v2, v2, v7
	v_mul_hi_u32 v2, v5, v2
	s_delay_alu instid0(VALU_DEP_1) | instskip(SKIP_1) | instid1(VALU_DEP_2)
	v_mul_lo_u32 v7, v2, s20
	v_add_nc_u32_e32 v8, 1, v2
	v_sub_nc_u32_e32 v7, v5, v7
	s_delay_alu instid0(VALU_DEP_1) | instskip(SKIP_1) | instid1(VALU_DEP_2)
	v_subrev_nc_u32_e32 v9, s20, v7
	v_cmp_le_u32_e32 vcc_lo, s20, v7
	v_dual_cndmask_b32 v7, v7, v9 :: v_dual_cndmask_b32 v2, v2, v8
	s_delay_alu instid0(VALU_DEP_1) | instskip(NEXT) | instid1(VALU_DEP_2)
	v_cmp_le_u32_e32 vcc_lo, s20, v7
	v_add_nc_u32_e32 v8, 1, v2
	s_delay_alu instid0(VALU_DEP_1)
	v_dual_cndmask_b32 v7, v2, v8 :: v_dual_mov_b32 v8, v1
.LBB0_6:                                ;   in Loop: Header=BB0_2 Depth=1
	s_or_b32 exec_lo, exec_lo, s2
	s_load_b64 s[2:3], s[14:15], 0x0
	s_delay_alu instid0(VALU_DEP_1) | instskip(NEXT) | instid1(VALU_DEP_2)
	v_mul_lo_u32 v2, v8, s20
	v_mul_lo_u32 v11, v7, s21
	v_mad_u64_u32 v[9:10], null, v7, s20, 0
	s_add_u32 s18, s18, 1
	s_addc_u32 s19, s19, 0
	s_add_u32 s14, s14, 8
	s_addc_u32 s15, s15, 0
	;; [unrolled: 2-line block ×3, first 2 shown]
	s_delay_alu instid0(VALU_DEP_1) | instskip(SKIP_1) | instid1(VALU_DEP_2)
	v_add3_u32 v2, v10, v11, v2
	v_sub_co_u32 v9, vcc_lo, v5, v9
	v_sub_co_ci_u32_e32 v2, vcc_lo, v6, v2, vcc_lo
	s_waitcnt lgkmcnt(0)
	s_delay_alu instid0(VALU_DEP_2) | instskip(NEXT) | instid1(VALU_DEP_2)
	v_mul_lo_u32 v10, s3, v9
	v_mul_lo_u32 v2, s2, v2
	v_mad_u64_u32 v[5:6], null, s2, v9, v[3:4]
	v_cmp_ge_u64_e64 s2, s[18:19], s[6:7]
	s_delay_alu instid0(VALU_DEP_1) | instskip(NEXT) | instid1(VALU_DEP_2)
	s_and_b32 vcc_lo, exec_lo, s2
	v_add3_u32 v4, v10, v6, v2
	s_delay_alu instid0(VALU_DEP_3)
	v_mov_b32_e32 v3, v5
	s_cbranch_vccnz .LBB0_9
; %bb.7:                                ;   in Loop: Header=BB0_2 Depth=1
	v_dual_mov_b32 v5, v7 :: v_dual_mov_b32 v6, v8
	s_branch .LBB0_2
.LBB0_8:
	v_dual_mov_b32 v8, v6 :: v_dual_mov_b32 v7, v5
.LBB0_9:
	s_lshl_b64 s[2:3], s[6:7], 3
	v_mul_hi_u32 v1, 0x199999a, v0
	s_add_u32 s2, s12, s2
	s_addc_u32 s3, s13, s3
	s_load_b64 s[0:1], s[0:1], 0x20
	s_load_b64 s[2:3], s[2:3], 0x0
                                        ; implicit-def: $vgpr96
                                        ; implicit-def: $vgpr100
                                        ; implicit-def: $vgpr101
                                        ; implicit-def: $vgpr103
                                        ; implicit-def: $vgpr106
                                        ; implicit-def: $vgpr102
                                        ; implicit-def: $vgpr98
                                        ; implicit-def: $vgpr105
                                        ; implicit-def: $vgpr108
	s_delay_alu instid0(VALU_DEP_1) | instskip(NEXT) | instid1(VALU_DEP_1)
	v_mul_u32_u24_e32 v1, 0xa0, v1
	v_sub_nc_u32_e32 v92, v0, v1
	s_delay_alu instid0(VALU_DEP_1)
	v_add_nc_u32_e32 v147, 0xa0, v92
	v_add_nc_u32_e32 v146, 0x140, v92
	;; [unrolled: 1-line block ×4, first 2 shown]
	v_or_b32_e32 v143, 0x500, v92
	s_waitcnt lgkmcnt(0)
	v_cmp_gt_u64_e32 vcc_lo, s[0:1], v[7:8]
	v_mul_lo_u32 v2, s2, v8
	v_mul_lo_u32 v5, s3, v7
	v_mad_u64_u32 v[0:1], null, s2, v7, v[3:4]
	v_cmp_le_u64_e64 s0, s[0:1], v[7:8]
	v_add_nc_u32_e32 v148, 0x320, v92
	v_add_nc_u32_e32 v151, 0x1e0, v92
	;; [unrolled: 1-line block ×4, first 2 shown]
	v_add3_u32 v1, v5, v1, v2
	s_and_saveexec_b32 s1, s0
	s_delay_alu instid0(SALU_CYCLE_1)
	s_xor_b32 s0, exec_lo, s1
; %bb.10:
	v_add_nc_u32_e32 v96, 0xa0, v92
	v_add_nc_u32_e32 v100, 0x140, v92
	;; [unrolled: 1-line block ×4, first 2 shown]
	v_or_b32_e32 v106, 0x500, v92
	v_add_nc_u32_e32 v102, 0x320, v92
	v_add_nc_u32_e32 v98, 0x1e0, v92
	;; [unrolled: 1-line block ×4, first 2 shown]
; %bb.11:
	s_or_saveexec_b32 s1, s0
	v_lshlrev_b64 v[94:95], 4, v[0:1]
	v_add_nc_u32_e32 v157, 0x640, v92
	v_add_nc_u32_e32 v155, 0x780, v92
	;; [unrolled: 1-line block ×7, first 2 shown]
                                        ; implicit-def: $vgpr10_vgpr11
                                        ; implicit-def: $vgpr66_vgpr67
                                        ; implicit-def: $vgpr30_vgpr31
                                        ; implicit-def: $vgpr34_vgpr35
                                        ; implicit-def: $vgpr2_vgpr3
                                        ; implicit-def: $vgpr70_vgpr71
                                        ; implicit-def: $vgpr54_vgpr55
                                        ; implicit-def: $vgpr74_vgpr75
                                        ; implicit-def: $vgpr26_vgpr27
                                        ; implicit-def: $vgpr22_vgpr23
                                        ; implicit-def: $vgpr18_vgpr19
                                        ; implicit-def: $vgpr62_vgpr63
                                        ; implicit-def: $vgpr50_vgpr51
                                        ; implicit-def: $vgpr78_vgpr79
                                        ; implicit-def: $vgpr58_vgpr59
                                        ; implicit-def: $vgpr6_vgpr7
                                        ; implicit-def: $vgpr38_vgpr39
                                        ; implicit-def: $vgpr42_vgpr43
                                        ; implicit-def: $vgpr46_vgpr47
                                        ; implicit-def: $vgpr14_vgpr15
	s_xor_b32 exec_lo, exec_lo, s1
	s_cbranch_execz .LBB0_13
; %bb.12:
	v_mad_u64_u32 v[0:1], null, s8, v92, 0
	v_mad_u64_u32 v[2:3], null, s8, v146, 0
	;; [unrolled: 1-line block ×3, first 2 shown]
	v_add_co_u32 v72, s0, s10, v94
	s_delay_alu instid0(VALU_DEP_1) | instskip(NEXT) | instid1(VALU_DEP_4)
	v_add_co_ci_u32_e64 v73, s0, s11, v95, s0
	v_mad_u64_u32 v[4:5], null, s9, v92, v[1:2]
	v_mad_u64_u32 v[5:6], null, s8, v144, 0
	v_mov_b32_e32 v1, v3
	v_mad_u64_u32 v[18:19], null, s8, v143, 0
	v_mad_u64_u32 v[20:21], null, s8, v157, 0
	s_delay_alu instid0(VALU_DEP_3)
	v_mad_u64_u32 v[7:8], null, s9, v146, v[1:2]
	v_dual_mov_b32 v1, v4 :: v_dual_mov_b32 v4, v6
	v_or_b32_e32 v32, 0xa00, v92
	v_mad_u64_u32 v[25:26], null, s8, v152, 0
	v_mad_u64_u32 v[50:51], null, s8, v156, 0
	v_mov_b32_e32 v3, v7
	v_mad_u64_u32 v[6:7], null, s9, v144, v[4:5]
	v_mov_b32_e32 v4, v17
	v_lshlrev_b64 v[0:1], 4, v[0:1]
	s_delay_alu instid0(VALU_DEP_4) | instskip(SKIP_1) | instid1(VALU_DEP_4)
	v_lshlrev_b64 v[2:3], 4, v[2:3]
	v_mad_u64_u32 v[23:24], null, s8, v32, 0
	v_mad_u64_u32 v[7:8], null, s9, v145, v[4:5]
	s_delay_alu instid0(VALU_DEP_4) | instskip(NEXT) | instid1(VALU_DEP_1)
	v_add_co_u32 v0, s0, v72, v0
	v_add_co_ci_u32_e64 v1, s0, v73, v1, s0
	v_add_co_u32 v2, s0, v72, v2
	s_delay_alu instid0(VALU_DEP_1)
	v_add_co_ci_u32_e64 v3, s0, v73, v3, s0
	s_clause 0x1
	global_load_b128 v[12:15], v[0:1], off
	global_load_b128 v[8:11], v[2:3], off
	v_lshlrev_b64 v[1:2], 4, v[5:6]
	v_dual_mov_b32 v0, v19 :: v_dual_mov_b32 v3, v21
	v_mov_b32_e32 v17, v7
	v_add_nc_u32_e32 v55, 0x960, v92
	v_mad_u64_u32 v[60:61], null, s8, v154, 0
	s_delay_alu instid0(VALU_DEP_4) | instskip(NEXT) | instid1(VALU_DEP_4)
	v_mad_u64_u32 v[4:5], null, s9, v143, v[0:1]
	v_lshlrev_b64 v[16:17], 4, v[16:17]
	v_add_co_u32 v0, s0, v72, v1
	s_delay_alu instid0(VALU_DEP_1)
	v_add_co_ci_u32_e64 v1, s0, v73, v2, s0
	v_dual_mov_b32 v105, v149 :: v_dual_mov_b32 v102, v148
	v_mad_u64_u32 v[5:6], null, s9, v157, v[3:4]
	v_mad_u64_u32 v[6:7], null, s8, v155, 0
	v_mov_b32_e32 v19, v4
	v_add_co_u32 v3, s0, v72, v16
	s_delay_alu instid0(VALU_DEP_1) | instskip(NEXT) | instid1(VALU_DEP_4)
	v_add_co_ci_u32_e64 v4, s0, v73, v17, s0
	v_dual_mov_b32 v21, v5 :: v_dual_mov_b32 v2, v7
	s_delay_alu instid0(VALU_DEP_4) | instskip(SKIP_1) | instid1(VALU_DEP_3)
	v_lshlrev_b64 v[16:17], 4, v[18:19]
	v_dual_mov_b32 v106, v143 :: v_dual_mov_b32 v103, v145
	v_lshlrev_b64 v[18:19], 4, v[20:21]
	s_delay_alu instid0(VALU_DEP_4) | instskip(SKIP_2) | instid1(VALU_DEP_1)
	v_mad_u64_u32 v[20:21], null, s9, v155, v[2:3]
	v_mad_u64_u32 v[21:22], null, s8, v153, 0
	v_add_co_u32 v16, s0, v72, v16
	v_add_co_ci_u32_e64 v17, s0, v73, v17, s0
	s_delay_alu instid0(VALU_DEP_4) | instskip(SKIP_4) | instid1(VALU_DEP_3)
	v_mov_b32_e32 v7, v20
	v_add_co_u32 v18, s0, v72, v18
	v_mov_b32_e32 v2, v22
	v_add_co_ci_u32_e64 v19, s0, v73, v19, s0
	v_dual_mov_b32 v101, v144 :: v_dual_mov_b32 v100, v146
	v_mad_u64_u32 v[27:28], null, s9, v153, v[2:3]
	s_clause 0x3
	global_load_b128 v[64:67], v[0:1], off
	global_load_b128 v[44:47], v[3:4], off
	;; [unrolled: 1-line block ×4, first 2 shown]
	v_lshlrev_b64 v[1:2], 4, v[6:7]
	v_mov_b32_e32 v0, v24
	v_mad_u64_u32 v[16:17], null, s8, v147, 0
	v_mov_b32_e32 v96, v147
	v_mov_b32_e32 v22, v27
	s_delay_alu instid0(VALU_DEP_4) | instskip(SKIP_2) | instid1(VALU_DEP_1)
	v_mad_u64_u32 v[4:5], null, s9, v32, v[0:1]
	v_mov_b32_e32 v3, v26
	v_add_co_u32 v0, s0, v72, v1
	v_add_co_ci_u32_e64 v1, s0, v73, v2, s0
	v_mov_b32_e32 v2, v17
	v_mov_b32_e32 v24, v4
	v_mad_u64_u32 v[5:6], null, s9, v152, v[3:4]
	v_lshlrev_b64 v[6:7], 4, v[21:22]
	v_add_nc_u32_e32 v74, 0xbe0, v92
	v_mov_b32_e32 v98, v151
	v_mov_b32_e32 v108, v150
	s_delay_alu instid0(VALU_DEP_4) | instskip(SKIP_3) | instid1(VALU_DEP_4)
	v_add_co_u32 v3, s0, v72, v6
	v_mov_b32_e32 v26, v5
	v_lshlrev_b64 v[5:6], 4, v[23:24]
	v_add_co_ci_u32_e64 v4, s0, v73, v7, s0
	v_mad_u64_u32 v[19:20], null, s9, v147, v[2:3]
	v_mad_u64_u32 v[20:21], null, s8, v151, 0
	v_lshlrev_b64 v[17:18], 4, v[25:26]
	v_add_co_u32 v5, s0, v72, v5
	s_delay_alu instid0(VALU_DEP_1) | instskip(SKIP_3) | instid1(VALU_DEP_1)
	v_add_co_ci_u32_e64 v6, s0, v73, v6, s0
	v_mad_u64_u32 v[62:63], null, s8, v74, 0
	v_mov_b32_e32 v2, v21
	v_add_co_u32 v22, s0, v72, v17
	v_add_co_ci_u32_e64 v23, s0, v73, v18, s0
	s_delay_alu instid0(VALU_DEP_3)
	v_mad_u64_u32 v[24:25], null, s9, v151, v[2:3]
	v_mov_b32_e32 v17, v19
	v_mad_u64_u32 v[18:19], null, s8, v148, 0
	s_clause 0x3
	global_load_b128 v[32:35], v[0:1], off
	global_load_b128 v[36:39], v[3:4], off
	;; [unrolled: 1-line block ×4, first 2 shown]
	v_mad_u64_u32 v[22:23], null, s8, v149, 0
	v_mov_b32_e32 v21, v24
	v_lshlrev_b64 v[16:17], 4, v[16:17]
	v_mad_u64_u32 v[24:25], null, s9, v148, v[19:20]
	s_delay_alu instid0(VALU_DEP_3) | instskip(SKIP_3) | instid1(VALU_DEP_1)
	v_lshlrev_b64 v[20:21], 4, v[20:21]
	v_mad_u64_u32 v[25:26], null, s8, v150, 0
	v_mov_b32_e32 v19, v23
	v_add_co_u32 v16, s0, v72, v16
	v_add_co_ci_u32_e64 v17, s0, v73, v17, s0
	s_delay_alu instid0(VALU_DEP_3) | instskip(SKIP_1) | instid1(VALU_DEP_1)
	v_mad_u64_u32 v[48:49], null, s9, v149, v[19:20]
	v_add_co_u32 v20, s0, v72, v20
	v_add_co_ci_u32_e64 v21, s0, v73, v21, s0
	s_clause 0x1
	global_load_b128 v[68:71], v[16:17], off
	global_load_b128 v[56:59], v[20:21], off
	v_mov_b32_e32 v23, v48
	v_mad_u64_u32 v[48:49], null, s8, v158, 0
	v_dual_mov_b32 v19, v24 :: v_dual_mov_b32 v24, v26
	s_delay_alu instid0(VALU_DEP_1) | instskip(NEXT) | instid1(VALU_DEP_3)
	v_mad_u64_u32 v[26:27], null, s9, v150, v[24:25]
	v_mov_b32_e32 v24, v49
	s_delay_alu instid0(VALU_DEP_3) | instskip(NEXT) | instid1(VALU_DEP_2)
	v_lshlrev_b64 v[18:19], 4, v[18:19]
	v_mad_u64_u32 v[52:53], null, s9, v158, v[24:25]
	s_delay_alu instid0(VALU_DEP_4) | instskip(SKIP_3) | instid1(VALU_DEP_1)
	v_lshlrev_b64 v[25:26], 4, v[25:26]
	v_mov_b32_e32 v24, v51
	v_lshlrev_b64 v[22:23], 4, v[22:23]
	v_add_co_u32 v18, s0, v72, v18
	v_add_co_ci_u32_e64 v19, s0, v73, v19, s0
	v_mov_b32_e32 v49, v52
	v_mad_u64_u32 v[51:52], null, s9, v156, v[24:25]
	v_mad_u64_u32 v[52:53], null, s8, v55, 0
	v_add_co_u32 v22, s0, v72, v22
	s_delay_alu instid0(VALU_DEP_1) | instskip(SKIP_1) | instid1(VALU_DEP_1)
	v_add_co_ci_u32_e64 v23, s0, v73, v23, s0
	v_add_co_u32 v24, s0, v72, v25
	v_add_co_ci_u32_e64 v25, s0, v73, v26, s0
	v_lshlrev_b64 v[26:27], 4, v[48:49]
	v_mov_b32_e32 v48, v53
	v_mov_b32_e32 v49, v61
	s_delay_alu instid0(VALU_DEP_3) | instskip(NEXT) | instid1(VALU_DEP_2)
	v_add_co_u32 v26, s0, v72, v26
	v_mad_u64_u32 v[53:54], null, s9, v55, v[48:49]
	v_mad_u64_u32 v[54:55], null, s9, v154, v[49:50]
	v_lshlrev_b64 v[48:49], 4, v[50:51]
	v_mov_b32_e32 v50, v63
	v_add_co_ci_u32_e64 v27, s0, v73, v27, s0
	s_delay_alu instid0(VALU_DEP_2) | instskip(NEXT) | instid1(VALU_DEP_4)
	v_mad_u64_u32 v[16:17], null, s9, v74, v[50:51]
	v_add_co_u32 v20, s0, v72, v48
	v_mov_b32_e32 v61, v54
	v_add_co_ci_u32_e64 v21, s0, v73, v49, s0
	v_lshlrev_b64 v[48:49], 4, v[52:53]
	v_mov_b32_e32 v63, v16
	s_clause 0x1
	global_load_b128 v[76:79], v[18:19], off
	global_load_b128 v[52:55], v[22:23], off
	v_lshlrev_b64 v[17:18], 4, v[60:61]
	v_add_co_u32 v22, s0, v72, v48
	s_delay_alu instid0(VALU_DEP_1) | instskip(SKIP_1) | instid1(VALU_DEP_4)
	v_add_co_ci_u32_e64 v23, s0, v73, v49, s0
	v_lshlrev_b64 v[48:49], 4, v[62:63]
	v_add_co_u32 v16, s0, v72, v17
	s_delay_alu instid0(VALU_DEP_1) | instskip(NEXT) | instid1(VALU_DEP_3)
	v_add_co_ci_u32_e64 v17, s0, v73, v18, s0
	v_add_co_u32 v18, s0, v72, v48
	s_delay_alu instid0(VALU_DEP_1)
	v_add_co_ci_u32_e64 v19, s0, v73, v49, s0
	s_clause 0x5
	global_load_b128 v[72:75], v[24:25], off
	global_load_b128 v[48:51], v[26:27], off
	;; [unrolled: 1-line block ×6, first 2 shown]
.LBB0_13:
	s_or_b32 exec_lo, exec_lo, s1
	s_waitcnt vmcnt(10)
	v_add_f64 v[84:85], v[0:1], v[44:45]
	v_add_f64 v[88:89], v[66:67], v[14:15]
	;; [unrolled: 1-line block ×4, first 2 shown]
	s_waitcnt vmcnt(7)
	v_add_f64 v[137:138], v[68:69], v[76:77]
	v_add_f64 v[119:120], v[28:29], v[36:37]
	;; [unrolled: 1-line block ×9, first 2 shown]
	s_waitcnt vmcnt(2)
	v_add_f64 v[161:162], v[24:25], v[48:49]
	s_waitcnt vmcnt(0)
	v_add_f64 v[167:168], v[52:53], v[16:17]
	v_add_f64 v[177:178], v[30:31], -v[38:39]
	v_add_f64 v[123:124], v[2:3], v[46:47]
	v_add_f64 v[80:81], v[66:67], -v[6:7]
	;; [unrolled: 2-line block ×3, first 2 shown]
	v_add_f64 v[66:67], v[42:43], -v[66:67]
	v_add_f64 v[141:142], v[42:43], -v[34:35]
	;; [unrolled: 1-line block ×10, first 2 shown]
	s_mov_b32 s6, 0x134454ff
	s_mov_b32 s7, 0x3fee6f0e
	;; [unrolled: 1-line block ×4, first 2 shown]
	v_add_f64 v[82:83], v[64:65], -v[40:41]
	v_add_f64 v[127:128], v[20:21], v[76:77]
	v_add_f64 v[129:130], v[74:75], v[62:63]
	;; [unrolled: 1-line block ×3, first 2 shown]
	v_fma_f64 v[84:85], v[84:85], -0.5, v[8:9]
	v_add_f64 v[42:43], v[42:43], v[88:89]
	v_add_f64 v[88:89], v[72:73], -v[60:61]
	v_add_f64 v[28:29], v[28:29], v[90:91]
	v_add_f64 v[72:73], v[72:73], v[137:138]
	v_fma_f64 v[90:91], v[121:122], -0.5, v[10:11]
	v_fma_f64 v[8:9], v[119:120], -0.5, v[8:9]
	v_add_f64 v[133:134], v[40:41], -v[64:65]
	v_add_f64 v[159:160], v[40:41], -v[32:33]
	;; [unrolled: 1-line block ×8, first 2 shown]
	v_add_f64 v[40:41], v[40:41], v[86:87]
	v_add_f64 v[86:87], v[74:75], -v[62:63]
	v_add_f64 v[30:31], v[30:31], v[109:110]
	v_add_f64 v[74:75], v[74:75], v[139:140]
	v_add_f64 v[109:110], v[54:55], -v[18:19]
	v_fma_f64 v[121:122], v[161:162], -0.5, v[56:57]
	v_add_f64 v[137:138], v[50:51], -v[26:27]
	v_add_f64 v[139:140], v[54:55], v[18:19]
	v_fma_f64 v[161:162], v[167:168], -0.5, v[56:57]
	v_fma_f64 v[111:112], v[111:112], -0.5, v[12:13]
	;; [unrolled: 1-line block ×5, first 2 shown]
	v_add_f64 v[117:118], v[26:27], v[50:51]
	v_add_f64 v[189:190], v[2:3], -v[38:39]
	v_add_f64 v[119:120], v[20:21], -v[60:61]
	v_fma_f64 v[10:11], v[123:124], -0.5, v[10:11]
	v_add_f64 v[123:124], v[60:61], -v[20:21]
	s_mov_b32 s14, 0x4755a5e
	v_add_f64 v[175:176], v[187:188], v[175:176]
	s_mov_b32 s15, 0x3fe2cf23
	s_mov_b32 s13, 0xbfe2cf23
	;; [unrolled: 1-line block ×3, first 2 shown]
	v_fma_f64 v[115:116], v[177:178], s[2:3], v[84:85]
	v_fma_f64 v[84:85], v[177:178], s[6:7], v[84:85]
	v_add_f64 v[163:164], v[4:5], -v[32:33]
	v_add_f64 v[165:166], v[32:33], -v[4:5]
	v_add_f64 v[60:61], v[60:61], v[72:73]
	v_fma_f64 v[72:73], v[44:45], s[2:3], v[90:91]
	v_fma_f64 v[187:188], v[171:172], s[6:7], v[8:9]
	;; [unrolled: 1-line block ×3, first 2 shown]
	v_add_f64 v[169:170], v[6:7], -v[34:35]
	v_add_f64 v[183:184], v[34:35], -v[6:7]
	;; [unrolled: 1-line block ×4, first 2 shown]
	v_fma_f64 v[125:126], v[125:126], -0.5, v[68:69]
	v_fma_f64 v[68:69], v[127:128], -0.5, v[68:69]
	;; [unrolled: 1-line block ×4, first 2 shown]
	v_add_f64 v[129:130], v[62:63], -v[22:23]
	v_add_f64 v[131:132], v[52:53], -v[48:49]
	v_add_f64 v[32:33], v[32:33], v[40:41]
	v_add_f64 v[34:35], v[34:35], v[42:43]
	v_add_f64 v[40:41], v[16:17], -v[24:25]
	v_add_f64 v[42:43], v[48:49], -v[52:53]
	v_add_f64 v[28:29], v[36:37], v[28:29]
	v_add_f64 v[30:31], v[38:39], v[30:31]
	v_add_f64 v[36:37], v[24:25], -v[16:17]
	v_add_f64 v[38:39], v[48:49], -v[24:25]
	v_add_f64 v[62:63], v[62:63], v[74:75]
	v_fma_f64 v[74:75], v[109:110], s[6:7], v[121:122]
	v_fma_f64 v[121:122], v[109:110], s[2:3], v[121:122]
	v_add_f64 v[173:174], v[185:186], v[173:174]
	v_fma_f64 v[185:186], v[137:138], s[2:3], v[161:162]
	v_fma_f64 v[161:162], v[137:138], s[6:7], v[161:162]
	v_fma_f64 v[139:140], v[139:140], -0.5, v[58:59]
	v_fma_f64 v[117:118], v[117:118], -0.5, v[58:59]
	v_fma_f64 v[90:91], v[44:45], s[6:7], v[90:91]
	v_add_f64 v[179:180], v[189:190], v[179:180]
	v_fma_f64 v[189:190], v[181:182], s[6:7], v[10:11]
	v_fma_f64 v[10:11], v[181:182], s[2:3], v[10:11]
	;; [unrolled: 1-line block ×4, first 2 shown]
	v_add_f64 v[171:172], v[52:53], -v[16:17]
	v_add_f64 v[52:53], v[52:53], v[56:57]
	v_add_f64 v[56:57], v[54:55], v[58:59]
	v_fma_f64 v[72:73], v[181:182], s[12:13], v[72:73]
	v_add_f64 v[58:59], v[50:51], -v[54:55]
	v_fma_f64 v[8:9], v[177:178], s[12:13], v[8:9]
	v_add_f64 v[54:55], v[54:55], -v[50:51]
	v_add_f64 v[64:65], v[64:65], -v[4:5]
	v_add_f64 v[82:83], v[163:164], v[82:83]
	v_fma_f64 v[163:164], v[80:81], s[6:7], v[111:112]
	v_fma_f64 v[111:112], v[80:81], s[2:3], v[111:112]
	;; [unrolled: 1-line block ×4, first 2 shown]
	s_mov_b32 s16, 0x372fe950
	s_mov_b32 s17, 0x3fd3c6ef
	v_fma_f64 v[12:13], v[141:142], s[6:7], v[12:13]
	v_add_f64 v[46:47], v[199:200], v[46:47]
	v_fma_f64 v[199:200], v[191:192], s[6:7], v[125:126]
	v_add_f64 v[40:41], v[40:41], v[131:132]
	v_add_f64 v[131:132], v[26:27], -v[18:19]
	v_fma_f64 v[125:126], v[191:192], s[2:3], v[125:126]
	v_add_f64 v[76:77], v[76:77], -v[20:21]
	v_add_f64 v[36:37], v[36:37], v[42:43]
	v_add_f64 v[133:134], v[165:166], v[133:134]
	s_mov_b32 s18, 0x9b97f4a8
	v_fma_f64 v[74:75], v[137:138], s[14:15], v[74:75]
	v_fma_f64 v[121:122], v[137:138], s[12:13], v[121:122]
	s_mov_b32 s19, 0x3fe9e377
	v_fma_f64 v[42:43], v[109:110], s[14:15], v[185:186]
	v_fma_f64 v[109:110], v[109:110], s[12:13], v[161:162]
	;; [unrolled: 1-line block ×3, first 2 shown]
	v_add_f64 v[161:162], v[18:19], -v[26:27]
	v_fma_f64 v[139:140], v[38:39], s[6:7], v[139:140]
	v_fma_f64 v[90:91], v[181:182], s[14:15], v[90:91]
	v_add_f64 v[135:136], v[169:170], v[135:136]
	v_fma_f64 v[10:11], v[44:45], s[14:15], v[10:11]
	v_fma_f64 v[44:45], v[44:45], s[12:13], v[189:190]
	;; [unrolled: 1-line block ×7, first 2 shown]
	v_add_f64 v[48:49], v[48:49], v[52:53]
	v_fma_f64 v[8:9], v[173:174], s[16:17], v[8:9]
	v_add_f64 v[50:51], v[50:51], v[56:57]
	v_fma_f64 v[181:182], v[64:65], s[2:3], v[113:114]
	v_add_f64 v[119:120], v[119:120], v[193:194]
	v_add_f64 v[123:124], v[123:124], v[195:196]
	v_fma_f64 v[111:112], v[141:142], s[12:13], v[111:112]
	v_add_f64 v[66:67], v[183:184], v[66:67]
	v_add_f64 v[28:29], v[0:1], v[28:29]
	v_add_f64 v[78:79], v[129:130], v[78:79]
	v_add_f64 v[60:61], v[20:21], v[60:61]
	v_fma_f64 v[12:13], v[80:81], s[12:13], v[12:13]
	v_cmp_gt_u32_e64 s0, 0x64, v92
	v_add_f64 v[58:59], v[131:132], v[58:59]
	v_fma_f64 v[74:75], v[40:41], s[16:17], v[74:75]
	v_fma_f64 v[40:41], v[40:41], s[16:17], v[121:122]
	;; [unrolled: 1-line block ×6, first 2 shown]
	v_add_f64 v[54:55], v[161:162], v[54:55]
	v_fma_f64 v[161:162], v[86:87], s[2:3], v[68:69]
	v_fma_f64 v[68:69], v[86:87], s[6:7], v[68:69]
	v_fma_f64 v[52:53], v[171:172], s[12:13], v[139:140]
	v_fma_f64 v[109:110], v[64:65], s[6:7], v[113:114]
	v_fma_f64 v[113:114], v[159:160], s[6:7], v[14:15]
	v_fma_f64 v[14:15], v[159:160], s[2:3], v[14:15]
	v_fma_f64 v[137:138], v[38:39], s[14:15], v[185:186]
	v_fma_f64 v[38:39], v[38:39], s[12:13], v[117:118]
	v_fma_f64 v[117:118], v[141:142], s[14:15], v[163:164]
	v_fma_f64 v[56:57], v[179:180], s[16:17], v[90:91]
	v_fma_f64 v[139:140], v[173:174], s[16:17], v[177:178]
	v_fma_f64 v[141:142], v[86:87], s[14:15], v[199:200]
	v_fma_f64 v[10:11], v[46:47], s[16:17], v[10:11]
	v_fma_f64 v[86:87], v[86:87], s[12:13], v[125:126]
	v_fma_f64 v[44:45], v[46:47], s[16:17], v[44:45]
	v_fma_f64 v[46:47], v[88:89], s[6:7], v[70:71]
	v_fma_f64 v[70:71], v[88:89], s[2:3], v[70:71]
	v_mul_f64 v[125:126], v[72:73], s[14:15]
	v_fma_f64 v[90:91], v[76:77], s[2:3], v[127:128]
	v_fma_f64 v[127:128], v[76:77], s[6:7], v[127:128]
	v_mul_f64 v[163:164], v[115:116], s[16:17]
	v_mul_f64 v[165:166], v[84:85], s[16:17]
	;; [unrolled: 1-line block ×3, first 2 shown]
	v_add_f64 v[24:25], v[24:25], v[48:49]
	v_fma_f64 v[80:81], v[159:160], s[12:13], v[181:182]
	v_mul_f64 v[115:116], v[115:116], s[2:3]
	v_add_f64 v[26:27], v[26:27], v[50:51]
	v_mul_f64 v[171:172], v[40:41], s[18:19]
	v_fma_f64 v[131:132], v[58:59], s[16:17], v[131:132]
	v_fma_f64 v[161:162], v[191:192], s[14:15], v[161:162]
	;; [unrolled: 1-line block ×4, first 2 shown]
	v_mul_f64 v[52:53], v[74:75], s[18:19]
	v_mul_f64 v[58:59], v[36:37], s[16:17]
	v_fma_f64 v[109:110], v[159:160], s[14:15], v[109:110]
	v_fma_f64 v[137:138], v[54:55], s[16:17], v[137:138]
	v_fma_f64 v[38:39], v[54:55], s[16:17], v[38:39]
	v_mul_f64 v[54:55], v[42:43], s[16:17]
	v_fma_f64 v[113:114], v[64:65], s[12:13], v[113:114]
	v_fma_f64 v[14:15], v[64:65], s[14:15], v[14:15]
	;; [unrolled: 1-line block ×5, first 2 shown]
	v_mul_f64 v[121:122], v[56:57], s[18:19]
	v_fma_f64 v[117:118], v[133:134], s[16:17], v[12:13]
	v_add_f64 v[12:13], v[4:5], v[32:33]
	v_fma_f64 v[46:47], v[76:77], s[12:13], v[46:47]
	v_fma_f64 v[70:71], v[76:77], s[14:15], v[70:71]
	;; [unrolled: 1-line block ×3, first 2 shown]
	v_add_f64 v[4:5], v[167:168], v[197:198]
	v_fma_f64 v[90:91], v[88:89], s[12:13], v[90:91]
	v_fma_f64 v[88:89], v[88:89], s[14:15], v[127:128]
	;; [unrolled: 1-line block ×3, first 2 shown]
	v_fma_f64 v[133:134], v[10:11], s[6:7], -v[165:166]
	v_mul_f64 v[32:33], v[139:140], s[12:13]
	v_fma_f64 v[56:57], v[56:57], s[14:15], -v[169:170]
	v_mul_f64 v[50:51], v[10:11], s[16:17]
	v_fma_f64 v[139:140], v[119:120], s[16:17], v[141:142]
	v_fma_f64 v[86:87], v[119:120], s[16:17], v[86:87]
	v_mul_f64 v[74:75], v[74:75], s[12:13]
	v_mul_f64 v[42:43], v[42:43], s[2:3]
	v_add_f64 v[159:160], v[22:23], v[62:63]
	v_fma_f64 v[62:63], v[135:136], s[16:17], v[80:81]
	v_add_f64 v[141:142], v[2:3], v[30:31]
	v_lshl_add_u32 v164, v106, 3, 0
	v_mul_f64 v[125:126], v[131:132], s[16:17]
	v_lshl_add_u32 v163, v103, 3, 0
	v_fma_f64 v[119:120], v[123:124], s[16:17], v[161:162]
	v_fma_f64 v[68:69], v[123:124], s[16:17], v[68:69]
	v_add_f64 v[123:124], v[16:17], v[24:25]
	v_fma_f64 v[58:59], v[131:132], s[6:7], -v[58:59]
	v_fma_f64 v[80:81], v[135:136], s[16:17], v[109:110]
	v_mul_f64 v[127:128], v[137:138], s[18:19]
	v_fma_f64 v[52:53], v[38:39], s[14:15], v[52:53]
	v_fma_f64 v[54:55], v[48:49], s[6:7], v[54:55]
	v_fma_f64 v[131:132], v[137:138], s[14:15], -v[171:172]
	v_fma_f64 v[109:110], v[66:67], s[16:17], v[113:114]
	v_fma_f64 v[113:114], v[44:45], s[16:17], v[115:116]
	v_add_f64 v[137:138], v[6:7], v[34:35]
	v_fma_f64 v[66:67], v[66:67], s[16:17], v[14:15]
	v_fma_f64 v[115:116], v[8:9], s[12:13], -v[121:122]
	v_add_f64 v[121:122], v[18:19], v[26:27]
	v_add_f64 v[0:1], v[28:29], v[12:13]
	v_add_f64 v[10:11], v[12:13], -v[28:29]
	v_fma_f64 v[135:136], v[78:79], s[16:17], v[46:47]
	v_add_f64 v[2:3], v[64:65], v[76:77]
	v_add_f64 v[12:13], v[64:65], -v[76:77]
	v_fma_f64 v[90:91], v[4:5], s[16:17], v[90:91]
	v_fma_f64 v[88:89], v[4:5], s[16:17], v[88:89]
	v_add_f64 v[4:5], v[111:112], v[129:130]
	v_add_f64 v[6:7], v[117:118], v[133:134]
	v_fma_f64 v[72:73], v[72:73], s[18:19], v[32:33]
	v_add_f64 v[8:9], v[82:83], v[56:57]
	v_fma_f64 v[84:85], v[84:85], s[2:3], -v[50:51]
	v_add_f64 v[14:15], v[111:112], -v[129:130]
	v_add_f64 v[16:17], v[117:118], -v[133:134]
	;; [unrolled: 1-line block ×3, first 2 shown]
	v_fma_f64 v[78:79], v[78:79], s[16:17], v[70:71]
	v_fma_f64 v[74:75], v[38:39], s[18:19], v[74:75]
	v_fma_f64 v[161:162], v[48:49], s[16:17], v[42:43]
	v_mul_u32_u24_e32 v76, 10, v92
	v_fma_f64 v[125:126], v[36:37], s[2:3], -v[125:126]
	v_add_f64 v[20:21], v[60:61], v[123:124]
	v_add_f64 v[30:31], v[60:61], -v[123:124]
	v_add_f64 v[26:27], v[68:69], v[58:59]
	v_add_f64 v[36:37], v[68:69], -v[58:59]
	v_fma_f64 v[127:128], v[40:41], s[12:13], -v[127:128]
	v_add_f64 v[22:23], v[139:140], v[52:53]
	v_add_f64 v[24:25], v[119:120], v[54:55]
	v_add_f64 v[28:29], v[86:87], v[131:132]
	v_add_f64 v[32:33], v[139:140], -v[52:53]
	v_add_f64 v[34:35], v[119:120], -v[54:55]
	;; [unrolled: 1-line block ×3, first 2 shown]
	v_add_f64 v[40:41], v[141:142], v[137:138]
	v_add_f64 v[48:49], v[80:81], v[115:116]
	v_add_f64 v[58:59], v[80:81], -v[115:116]
	v_mul_i32_i24_e32 v80, 10, v96
	v_lshl_add_u32 v81, v76, 3, 0
	v_add_f64 v[60:61], v[159:160], v[121:122]
	v_add_f64 v[70:71], v[159:160], -v[121:122]
	v_add_f64 v[50:51], v[137:138], -v[141:142]
	v_lshl_add_u32 v159, v80, 3, 0
	v_add_f64 v[44:45], v[109:110], v[113:114]
	v_add_f64 v[54:55], v[109:110], -v[113:114]
	v_mad_i32_i24 v160, 0xffffffb8, v92, v81
	v_add_f64 v[42:43], v[62:63], v[72:73]
	v_add_f64 v[52:53], v[62:63], -v[72:73]
	v_add_f64 v[46:47], v[66:67], v[84:85]
	v_add_f64 v[56:57], v[66:67], -v[84:85]
	v_add_nc_u32_e32 v84, 0x3000, v160
	v_add_nc_u32_e32 v86, 0x3c00, v160
	;; [unrolled: 1-line block ×3, first 2 shown]
	v_add_f64 v[62:63], v[90:91], v[74:75]
	v_add_f64 v[64:65], v[135:136], v[161:162]
	v_add_f64 v[72:73], v[90:91], -v[74:75]
	v_add_f64 v[74:75], v[135:136], -v[161:162]
	v_add_f64 v[66:67], v[78:79], v[125:126]
	ds_store_b128 v81, v[0:3]
	ds_store_b128 v81, v[4:7] offset:16
	ds_store_b128 v81, v[8:11] offset:32
	;; [unrolled: 1-line block ×4, first 2 shown]
	ds_store_b128 v159, v[20:23]
	ds_store_b128 v159, v[24:27] offset:16
	ds_store_b128 v159, v[28:31] offset:32
	;; [unrolled: 1-line block ×4, first 2 shown]
	v_and_b32_e32 v0, 0xffff, v96
	v_and_b32_e32 v1, 0xff, v92
	v_add_f64 v[76:77], v[78:79], -v[125:126]
	v_add_f64 v[78:79], v[88:89], -v[127:128]
	v_add_f64 v[68:69], v[88:89], v[127:128]
	v_mul_u32_u24_e32 v0, 0xcccd, v0
	v_add_nc_u32_e32 v87, 0x5800, v160
	v_add_nc_u32_e32 v139, 0x100, v160
	v_lshl_add_u32 v161, v100, 3, 0
	v_add_nc_u32_e32 v85, 0x4400, v160
	v_lshrrev_b32_e32 v104, 19, v0
	v_mul_lo_u16 v0, 0xcd, v1
	v_lshl_add_u32 v162, v101, 3, 0
	v_mad_i32_i24 v93, 0xffffffb8, v96, v159
	s_waitcnt lgkmcnt(0)
	v_mul_lo_u16 v12, v104, 10
	v_lshrrev_b16 v107, 11, v0
	s_barrier
	buffer_gl0_inv
	ds_load_b64 v[109:110], v160
	ds_load_b64 v[111:112], v161
	;; [unrolled: 1-line block ×4, first 2 shown]
	v_sub_nc_u16 v21, v96, v12
	v_mul_lo_u16 v20, v107, 10
	ds_load_2addr_b64 v[129:132], v84 offset0:64 offset1:224
	ds_load_2addr_b64 v[4:7], v86 offset1:160
	ds_load_2addr_b64 v[88:91], v85 offset0:64 offset1:224
	ds_load_2addr_b64 v[8:11], v133 offset1:160
	v_and_b32_e32 v97, 0xffff, v21
	v_sub_nc_u16 v20, v92, v20
	ds_load_2addr_b64 v[16:19], v87 offset0:64 offset1:224
	ds_load_b64 v[117:118], v164
	ds_load_b64 v[115:116], v93
	ds_load_2addr_stride64_b64 v[0:3], v139 offset0:7 offset1:12
	ds_load_2addr_stride64_b64 v[12:15], v139 offset0:17 offset1:22
	s_waitcnt lgkmcnt(0)
	s_barrier
	v_and_b32_e32 v99, 0xff, v20
	buffer_gl0_inv
	ds_store_b128 v81, v[40:43]
	ds_store_b128 v81, v[44:47] offset:16
	ds_store_b128 v81, v[48:51] offset:32
	;; [unrolled: 1-line block ×4, first 2 shown]
	v_mul_u32_u24_e32 v20, 9, v97
	v_mul_u32_u24_e32 v21, 9, v99
	ds_store_b128 v159, v[60:63]
	ds_store_b128 v159, v[64:67] offset:16
	ds_store_b128 v159, v[68:71] offset:32
	;; [unrolled: 1-line block ×3, first 2 shown]
	v_lshlrev_b32_e32 v52, 4, v21
	ds_store_b128 v159, v[76:79] offset:64
	s_waitcnt lgkmcnt(0)
	s_barrier
	buffer_gl0_inv
	global_load_b128 v[80:83], v52, s[4:5] offset:64
	v_lshlrev_b32_e32 v20, 4, v20
	s_clause 0x10
	global_load_b128 v[165:168], v20, s[4:5] offset:64
	global_load_b128 v[169:172], v52, s[4:5] offset:96
	;; [unrolled: 1-line block ×15, first 2 shown]
	global_load_b128 v[20:23], v20, s[4:5]
	global_load_b128 v[52:55], v52, s[4:5]
	ds_load_2addr_b64 v[135:138], v84 offset0:64 offset1:224
	ds_load_2addr_b64 v[181:184], v85 offset0:64 offset1:224
	ds_load_b64 v[185:186], v163
	ds_load_2addr_b64 v[72:75], v87 offset0:64 offset1:224
	ds_load_b64 v[127:128], v162
	ds_load_2addr_stride64_b64 v[76:79], v139 offset0:17 offset1:22
	v_lshlrev_b32_e32 v99, 3, v99
	v_lshlrev_b32_e32 v97, 3, v97
	s_waitcnt vmcnt(16) lgkmcnt(5)
	v_mul_f64 v[123:124], v[137:138], v[167:168]
	v_mul_f64 v[140:141], v[131:132], v[167:168]
	s_waitcnt vmcnt(15) lgkmcnt(4)
	v_mul_f64 v[167:168], v[181:182], v[171:172]
	v_mul_f64 v[171:172], v[88:89], v[171:172]
	s_waitcnt vmcnt(14)
	v_mul_f64 v[187:188], v[183:184], v[175:176]
	v_mul_f64 v[175:176], v[90:91], v[175:176]
	s_waitcnt vmcnt(13) lgkmcnt(3)
	v_mul_f64 v[189:190], v[185:186], v[179:180]
	v_mul_f64 v[179:180], v[121:122], v[179:180]
	s_waitcnt vmcnt(10) lgkmcnt(0)
	v_mul_f64 v[191:192], v[76:77], v[66:67]
	v_mul_f64 v[193:194], v[12:13], v[66:67]
	;; [unrolled: 1-line block ×4, first 2 shown]
	v_fma_f64 v[123:124], v[131:132], v[165:166], -v[123:124]
	v_mul_f64 v[131:132], v[74:75], v[38:39]
	v_fma_f64 v[90:91], v[90:91], v[173:174], -v[187:188]
	s_waitcnt vmcnt(4)
	v_mul_f64 v[187:188], v[127:128], v[62:63]
	v_fma_f64 v[66:67], v[183:184], v[173:174], v[175:176]
	v_fma_f64 v[76:77], v[76:77], v[64:65], v[193:194]
	v_fma_f64 v[125:126], v[129:130], v[80:81], -v[84:85]
	v_fma_f64 v[119:120], v[135:136], v[80:81], v[82:83]
	ds_load_2addr_b64 v[84:87], v86 offset1:160
	ds_load_2addr_b64 v[80:83], v133 offset1:160
	ds_load_b64 v[129:130], v164
	ds_load_b64 v[183:184], v161
	v_mul_f64 v[133:134], v[72:73], v[70:71]
	v_mul_f64 v[135:136], v[16:17], v[70:71]
	v_fma_f64 v[70:71], v[137:138], v[165:166], v[140:141]
	v_fma_f64 v[137:138], v[88:89], v[169:170], -v[167:168]
	v_fma_f64 v[88:89], v[181:182], v[169:170], v[171:172]
	v_mul_f64 v[169:170], v[78:79], v[26:27]
	ds_load_2addr_stride64_b64 v[165:168], v139 offset0:7 offset1:12
	v_fma_f64 v[139:140], v[185:186], v[177:178], v[179:180]
	v_fma_f64 v[141:142], v[121:122], v[177:178], -v[189:190]
	ds_load_b64 v[177:178], v93
	v_mul_f64 v[26:27], v[14:15], v[26:27]
	s_waitcnt lgkmcnt(5)
	v_mul_f64 v[171:172], v[84:85], v[46:47]
	s_waitcnt lgkmcnt(4)
	v_mul_f64 v[173:174], v[80:81], v[42:43]
	s_waitcnt vmcnt(3) lgkmcnt(3)
	v_mul_f64 v[179:180], v[129:130], v[58:59]
	v_mul_f64 v[181:182], v[86:87], v[34:35]
	;; [unrolled: 1-line block ×5, first 2 shown]
	s_waitcnt vmcnt(2) lgkmcnt(1)
	v_mul_f64 v[185:186], v[167:168], v[50:51]
	v_mul_f64 v[50:51], v[2:3], v[50:51]
	v_add_f64 v[189:190], v[123:124], v[90:91]
	v_fma_f64 v[121:122], v[16:17], v[68:69], -v[133:134]
	v_fma_f64 v[16:17], v[72:73], v[68:69], v[135:136]
	ds_load_b64 v[68:69], v160
	v_mul_f64 v[72:73], v[18:19], v[38:39]
	v_fma_f64 v[18:19], v[18:19], v[36:37], -v[131:132]
	v_fma_f64 v[131:132], v[12:13], v[64:65], -v[191:192]
	v_mul_f64 v[12:13], v[113:114], v[62:63]
	v_fma_f64 v[133:134], v[14:15], v[24:25], -v[169:170]
	v_mul_f64 v[14:15], v[8:9], v[42:43]
	s_waitcnt vmcnt(1)
	v_mul_f64 v[42:43], v[165:166], v[22:23]
	v_mul_f64 v[64:65], v[10:11], v[30:31]
	;; [unrolled: 1-line block ×3, first 2 shown]
	v_fma_f64 v[38:39], v[113:114], v[60:61], -v[187:188]
	s_waitcnt vmcnt(0)
	v_mul_f64 v[113:114], v[111:112], v[54:55]
	v_fma_f64 v[26:27], v[78:79], v[24:25], v[26:27]
	v_add_f64 v[24:25], v[141:142], -v[125:126]
	v_fma_f64 v[135:136], v[4:5], v[44:45], -v[171:172]
	v_mul_f64 v[171:172], v[183:184], v[54:55]
	v_fma_f64 v[8:9], v[8:9], v[40:41], -v[173:174]
	v_fma_f64 v[117:118], v[117:118], v[56:57], -v[179:180]
	v_fma_f64 v[169:170], v[6:7], v[32:33], -v[181:182]
	v_fma_f64 v[6:7], v[10:11], v[28:29], -v[175:176]
	v_fma_f64 v[30:31], v[84:85], v[44:45], v[46:47]
	v_add_f64 v[46:47], v[125:126], -v[141:142]
	v_add_f64 v[181:182], v[125:126], v[137:138]
	v_add_f64 v[199:200], v[119:120], v[88:89]
	v_fma_f64 v[34:35], v[2:3], v[48:49], -v[185:186]
	v_fma_f64 v[54:55], v[167:168], v[48:49], v[50:51]
	v_add_f64 v[50:51], v[119:120], -v[139:140]
	v_add_f64 v[205:206], v[70:71], v[66:67]
	s_waitcnt lgkmcnt(0)
	s_barrier
	buffer_gl0_inv
	v_add_f64 v[48:49], v[137:138], -v[121:122]
	v_add_f64 v[201:202], v[139:140], v[16:17]
	v_fma_f64 v[2:3], v[74:75], v[36:37], v[72:73]
	v_fma_f64 v[74:75], v[129:130], v[56:57], v[58:59]
	v_add_f64 v[78:79], v[131:132], -v[123:124]
	v_fma_f64 v[72:73], v[127:128], v[60:61], v[12:13]
	v_mul_f64 v[12:13], v[0:1], v[22:23]
	v_fma_f64 v[4:5], v[80:81], v[40:41], v[14:15]
	v_fma_f64 v[56:57], v[0:1], v[20:21], -v[42:43]
	v_fma_f64 v[0:1], v[82:83], v[28:29], v[64:65]
	v_add_f64 v[28:29], v[121:122], -v[137:138]
	v_fma_f64 v[10:11], v[86:87], v[32:33], v[62:63]
	v_add_f64 v[32:33], v[139:140], -v[119:120]
	v_add_f64 v[40:41], v[16:17], -v[88:89]
	;; [unrolled: 1-line block ×4, first 2 shown]
	v_fma_f64 v[58:59], v[111:112], v[52:53], -v[171:172]
	v_fma_f64 v[52:53], v[183:184], v[52:53], v[113:114]
	v_add_f64 v[14:15], v[38:39], -v[117:118]
	v_add_f64 v[22:23], v[8:9], -v[135:136]
	;; [unrolled: 1-line block ×12, first 2 shown]
	v_add_f64 v[175:176], v[117:118], v[135:136]
	v_add_f64 v[179:180], v[38:39], v[8:9]
	v_add_f64 v[183:184], v[141:142], v[121:122]
	v_add_f64 v[191:192], v[131:132], v[18:19]
	v_add_f64 v[203:204], v[109:110], v[38:39]
	v_add_f64 v[185:186], v[133:134], v[169:170]
	v_add_f64 v[187:188], v[34:35], v[6:7]
	v_add_f64 v[46:47], v[46:47], v[48:49]
	v_add_f64 v[209:210], v[54:55], -v[26:27]
	v_add_f64 v[84:85], v[2:3], -v[66:67]
	;; [unrolled: 1-line block ×3, first 2 shown]
	v_add_f64 v[207:208], v[76:77], v[2:3]
	v_add_f64 v[171:172], v[72:73], -v[74:75]
	v_fma_f64 v[165:166], v[165:166], v[20:21], v[12:13]
	v_add_f64 v[173:174], v[4:5], -v[30:31]
	v_add_f64 v[193:194], v[74:75], -v[72:73]
	;; [unrolled: 1-line block ×3, first 2 shown]
	v_add_f64 v[36:37], v[24:25], v[28:29]
	v_add_f64 v[28:29], v[56:57], v[131:132]
	v_add_f64 v[131:132], v[131:132], -v[18:19]
	v_add_f64 v[32:33], v[32:33], v[40:41]
	v_add_f64 v[40:41], v[50:51], v[60:61]
	;; [unrolled: 1-line block ×4, first 2 shown]
	v_add_f64 v[141:142], v[141:142], -v[121:122]
	v_add_f64 v[14:15], v[14:15], v[22:23]
	v_add_f64 v[139:140], v[139:140], -v[16:17]
	v_add_f64 v[22:23], v[42:43], v[44:45]
	v_add_f64 v[44:45], v[78:79], v[80:81]
	;; [unrolled: 1-line block ×3, first 2 shown]
	v_add_f64 v[78:79], v[0:1], -v[10:11]
	v_add_f64 v[20:21], v[62:63], v[64:65]
	v_add_f64 v[24:25], v[86:87], v[111:112]
	v_add_f64 v[64:65], v[125:126], -v[137:138]
	v_add_f64 v[48:49], v[113:114], v[127:128]
	v_add_f64 v[86:87], v[74:75], v[30:31]
	v_fma_f64 v[111:112], v[175:176], -0.5, v[109:110]
	v_fma_f64 v[109:110], v[179:180], -0.5, v[109:110]
	v_add_f64 v[113:114], v[72:73], v[4:5]
	v_fma_f64 v[127:128], v[181:182], -0.5, v[58:59]
	v_add_f64 v[62:63], v[123:124], -v[90:91]
	v_add_f64 v[175:176], v[26:27], v[10:11]
	v_fma_f64 v[179:180], v[199:200], -0.5, v[52:53]
	v_fma_f64 v[181:182], v[201:202], -0.5, v[52:53]
	v_add_f64 v[199:200], v[68:69], v[72:73]
	v_add_f64 v[201:202], v[38:39], -v[8:9]
	v_add_f64 v[42:43], v[82:83], v[84:85]
	v_add_f64 v[82:83], v[26:27], -v[54:55]
	v_add_f64 v[84:85], v[10:11], -v[0:1]
	v_add_f64 v[50:51], v[129:130], v[167:168]
	v_fma_f64 v[129:130], v[183:184], -0.5, v[58:59]
	v_add_f64 v[12:13], v[171:172], v[173:174]
	v_fma_f64 v[167:168], v[189:190], -0.5, v[56:57]
	v_fma_f64 v[171:172], v[191:192], -0.5, v[56:57]
	v_add_f64 v[173:174], v[119:120], -v[88:89]
	v_add_f64 v[183:184], v[54:55], v[0:1]
	v_add_f64 v[123:124], v[28:29], v[123:124]
	;; [unrolled: 1-line block ×4, first 2 shown]
	v_fma_f64 v[191:192], v[205:206], -0.5, v[165:166]
	v_add_f64 v[125:126], v[195:196], v[125:126]
	v_fma_f64 v[165:166], v[207:208], -0.5, v[165:166]
	v_add_f64 v[195:196], v[70:71], -v[66:67]
	v_add_f64 v[119:120], v[60:61], v[119:120]
	v_add_f64 v[76:77], v[76:77], -v[2:3]
	v_add_f64 v[60:61], v[117:118], -v[135:136]
	v_fma_f64 v[117:118], v[185:186], -0.5, v[115:116]
	v_add_f64 v[80:81], v[80:81], v[133:134]
	v_fma_f64 v[115:116], v[187:188], -0.5, v[115:116]
	v_add_f64 v[185:186], v[177:178], v[54:55]
	v_add_f64 v[58:59], v[193:194], v[197:198]
	;; [unrolled: 1-line block ×3, first 2 shown]
	v_add_f64 v[133:134], v[133:134], -v[169:170]
	v_fma_f64 v[78:79], v[86:87], -0.5, v[68:69]
	v_add_f64 v[54:55], v[54:55], -v[0:1]
	v_add_f64 v[205:206], v[34:35], -v[6:7]
	v_and_b32_e32 v39, 0xffff, v107
	v_fma_f64 v[187:188], v[139:140], s[2:3], v[127:128]
	v_fma_f64 v[127:128], v[139:140], s[6:7], v[127:128]
	v_add_nc_u32_e32 v34, 0x2200, v160
	v_fma_f64 v[86:87], v[64:65], s[6:7], v[181:182]
	v_add_f64 v[197:198], v[199:200], v[74:75]
	v_add_f64 v[74:75], v[74:75], -v[30:31]
	v_fma_f64 v[181:182], v[64:65], s[2:3], v[181:182]
	v_add_f64 v[199:200], v[26:27], -v[10:11]
	v_add_f64 v[52:53], v[82:83], v[84:85]
	v_fma_f64 v[82:83], v[113:114], -0.5, v[68:69]
	v_fma_f64 v[113:114], v[175:176], -0.5, v[177:178]
	v_fma_f64 v[84:85], v[141:142], s[2:3], v[179:180]
	v_add_nc_u32_e32 v68, 0xffffff9c, v92
	v_fma_f64 v[175:176], v[173:174], s[6:7], v[129:130]
	v_fma_f64 v[177:178], v[183:184], -0.5, v[177:178]
	v_fma_f64 v[129:130], v[173:174], s[2:3], v[129:130]
	v_add_f64 v[69:70], v[28:29], v[70:71]
	v_add_f64 v[135:136], v[189:190], v[135:136]
	v_add_f64 v[71:72], v[72:73], -v[4:5]
	v_add_f64 v[125:126], v[125:126], v[137:138]
	v_fma_f64 v[137:138], v[131:132], s[2:3], v[191:192]
	v_fma_f64 v[183:184], v[62:63], s[6:7], v[165:166]
	v_fma_f64 v[189:190], v[195:196], s[6:7], v[171:172]
	v_add_f64 v[88:89], v[119:120], v[88:89]
	v_fma_f64 v[119:120], v[141:142], s[6:7], v[179:180]
	v_fma_f64 v[193:194], v[76:77], s[2:3], v[167:168]
	v_fma_f64 v[167:168], v[76:77], s[6:7], v[167:168]
	;; [unrolled: 4-line block ×3, first 2 shown]
	v_lshrrev_b16 v73, 2, v96
	v_cndmask_b32_e64 v68, v68, v92, s0
	v_mov_b32_e32 v28, 0
	v_add_f64 v[185:186], v[185:186], v[26:27]
	v_add_f64 v[123:124], v[123:124], v[90:91]
	v_fma_f64 v[187:188], v[173:174], s[12:13], v[187:188]
	v_fma_f64 v[127:128], v[173:174], s[14:15], v[127:128]
	v_and_b32_e32 v73, 0xffff, v73
	v_mul_i32_i24_e32 v27, 3, v68
	v_fma_f64 v[191:192], v[141:142], s[12:13], v[86:87]
	v_fma_f64 v[173:174], v[54:55], s[6:7], v[117:118]
	;; [unrolled: 1-line block ×4, first 2 shown]
	v_mul_u32_u24_e32 v73, 0x147b, v73
	v_fma_f64 v[117:118], v[54:55], s[2:3], v[117:118]
	v_add_f64 v[30:31], v[197:198], v[30:31]
	v_lshrrev_b16 v91, 2, v100
	v_fma_f64 v[179:180], v[64:65], s[12:13], v[84:85]
	v_lshrrev_b32_e32 v35, 17, v73
	v_lshl_add_u32 v90, v98, 3, 0
	v_fma_f64 v[175:176], v[139:140], s[12:13], v[175:176]
	v_and_b32_e32 v91, 0xffff, v91
	v_fma_f64 v[129:130], v[139:140], s[14:15], v[129:130]
	v_fma_f64 v[139:140], v[74:75], s[2:3], v[109:110]
	v_add_f64 v[66:67], v[69:70], v[66:67]
	v_fma_f64 v[181:182], v[71:72], s[6:7], v[111:112]
	v_fma_f64 v[111:112], v[71:72], s[2:3], v[111:112]
	;; [unrolled: 1-line block ×5, first 2 shown]
	v_add_f64 v[69:70], v[125:126], v[121:122]
	v_fma_f64 v[64:65], v[64:65], s[14:15], v[119:120]
	v_fma_f64 v[193:194], v[195:196], s[12:13], v[193:194]
	;; [unrolled: 1-line block ×3, first 2 shown]
	v_add_f64 v[8:9], v[135:136], v[8:9]
	v_fma_f64 v[76:77], v[76:77], s[14:15], v[169:170]
	v_fma_f64 v[131:132], v[131:132], s[14:15], v[165:166]
	;; [unrolled: 1-line block ×3, first 2 shown]
	v_add_f64 v[6:7], v[80:81], v[6:7]
	v_mul_lo_u16 v87, 0x64, v35
	v_add_f64 v[16:17], v[88:89], v[16:17]
	v_add_f64 v[10:11], v[185:186], v[10:11]
	;; [unrolled: 1-line block ×3, first 2 shown]
	v_fma_f64 v[171:172], v[36:37], s[16:17], v[187:188]
	v_fma_f64 v[36:37], v[36:37], s[16:17], v[127:128]
	;; [unrolled: 1-line block ×7, first 2 shown]
	v_sub_nc_u16 v87, v96, v87
	v_mul_u32_u24_e32 v38, 0x147b, v91
	v_mul_u32_u24_e32 v91, 0x320, v104
	v_add_f64 v[4:5], v[30:31], v[4:5]
	v_lshl_add_u32 v29, v102, 3, 0
	v_fma_f64 v[165:166], v[32:33], s[16:17], v[179:180]
	v_and_b32_e32 v18, 0xffff, v87
	v_lshrrev_b32_e32 v38, 17, v38
	v_fma_f64 v[169:170], v[46:47], s[16:17], v[175:176]
	v_fma_f64 v[175:176], v[199:200], s[2:3], v[115:116]
	;; [unrolled: 1-line block ×15, first 2 shown]
	v_lshlrev_b64 v[129:130], 4, v[27:28]
	v_mul_u32_u24_e32 v27, 0x320, v39
	v_fma_f64 v[39:40], v[40:41], s[16:17], v[141:142]
	v_fma_f64 v[32:33], v[32:33], s[16:17], v[64:65]
	;; [unrolled: 1-line block ×7, first 2 shown]
	v_mul_f64 v[119:120], v[171:172], s[18:19]
	v_fma_f64 v[131:132], v[199:200], s[14:15], v[173:174]
	v_fma_f64 v[125:126], v[205:206], s[14:15], v[177:178]
	v_mul_f64 v[64:65], v[167:168], s[6:7]
	v_fma_f64 v[123:124], v[201:202], s[12:13], v[191:192]
	v_fma_f64 v[82:83], v[201:202], s[14:15], v[82:83]
	v_add_f64 v[2:3], v[66:67], v[2:3]
	v_add_f64 v[0:1], v[10:11], v[0:1]
	;; [unrolled: 1-line block ×3, first 2 shown]
	v_add_f64 v[6:7], v[6:7], -v[80:81]
	v_add_f64 v[10:11], v[8:9], v[69:70]
	v_mul_f64 v[62:63], v[165:166], s[14:15]
	v_add_f64 v[8:9], v[8:9], -v[69:70]
	v_mul_lo_u16 v104, 0x64, v38
	v_mul_f64 v[75:76], v[169:170], s[16:17]
	v_fma_f64 v[141:142], v[54:55], s[14:15], v[175:176]
	v_fma_f64 v[54:55], v[54:55], s[12:13], v[115:116]
	;; [unrolled: 1-line block ×3, first 2 shown]
	v_add3_u32 v27, 0, v27, v99
	v_add3_u32 v89, 0, v91, v97
	v_mul_u32_u24_e32 v91, 3, v18
	v_mul_f64 v[117:118], v[137:138], s[14:15]
	v_mul_f64 v[173:174], v[179:180], s[6:7]
	;; [unrolled: 1-line block ×3, first 2 shown]
	v_fma_f64 v[121:122], v[60:61], s[12:13], v[189:190]
	v_fma_f64 v[60:61], v[60:61], s[14:15], v[78:79]
	;; [unrolled: 1-line block ×6, first 2 shown]
	v_mul_f64 v[71:72], v[36:37], s[12:13]
	v_fma_f64 v[113:114], v[205:206], s[12:13], v[127:128]
	v_fma_f64 v[127:128], v[14:15], s[16:17], v[181:182]
	v_fma_f64 v[14:15], v[14:15], s[16:17], v[73:74]
	v_mul_f64 v[73:74], v[46:47], s[2:3]
	v_mul_f64 v[135:136], v[39:40], s[16:17]
	;; [unrolled: 1-line block ×8, first 2 shown]
	v_fma_f64 v[46:47], v[46:47], s[16:17], v[64:65]
	v_fma_f64 v[32:33], v[32:33], s[14:15], -v[119:120]
	v_fma_f64 v[66:67], v[58:59], s[16:17], v[123:124]
	v_fma_f64 v[58:59], v[58:59], s[16:17], v[82:83]
	v_sub_nc_u16 v83, v100, v104
	v_add_nc_u32_e32 v26, 0x2c00, v160
	v_add_nc_u32_e32 v84, 0x4a00, v160
	v_fma_f64 v[36:37], v[36:37], s[18:19], v[62:63]
	v_fma_f64 v[62:63], v[20:21], s[16:17], v[131:132]
	v_add_co_u32 v131, s0, s4, v129
	v_fma_f64 v[64:65], v[24:25], s[16:17], v[141:142]
	v_fma_f64 v[24:25], v[24:25], s[16:17], v[54:55]
	v_fma_f64 v[39:40], v[39:40], s[6:7], -v[75:76]
	v_fma_f64 v[19:20], v[20:21], s[16:17], v[115:116]
	v_add_co_ci_u32_e64 v132, s0, s5, v130, s0
	v_fma_f64 v[43:44], v[44:45], s[18:19], v[117:118]
	v_fma_f64 v[48:49], v[48:49], s[16:17], v[173:174]
	v_fma_f64 v[50:51], v[50:51], s[6:7], -v[175:176]
	v_fma_f64 v[54:55], v[12:13], s[16:17], v[121:122]
	v_fma_f64 v[12:13], v[12:13], s[16:17], v[60:61]
	;; [unrolled: 1-line block ×4, first 2 shown]
	v_add_nc_u32_e32 v110, 0x3600, v160
	v_add_nc_u32_e32 v85, 0x5400, v160
	v_fma_f64 v[71:72], v[165:166], s[18:19], v[71:72]
	v_fma_f64 v[69:70], v[52:53], s[16:17], v[113:114]
	;; [unrolled: 1-line block ×3, first 2 shown]
	v_add_f64 v[125:126], v[0:1], -v[2:3]
	v_fma_f64 v[73:74], v[167:168], s[16:17], v[73:74]
	v_fma_f64 v[75:76], v[169:170], s[2:3], -v[135:136]
	v_fma_f64 v[77:78], v[171:172], s[12:13], -v[139:140]
	v_fma_f64 v[79:80], v[137:138], s[18:19], v[177:178]
	v_fma_f64 v[81:82], v[179:180], s[16:17], v[181:182]
	v_fma_f64 v[87:88], v[183:184], s[2:3], -v[185:186]
	v_fma_f64 v[41:42], v[41:42], s[14:15], -v[193:194]
	v_fma_f64 v[111:112], v[187:188], s[12:13], -v[189:190]
	v_add_f64 v[115:116], v[133:134], v[46:47]
	v_add_f64 v[119:120], v[14:15], v[32:33]
	v_add_f64 v[14:15], v[14:15], -v[32:33]
	v_add_f64 v[45:46], v[133:134], -v[46:47]
	v_add_nc_u32_e32 v86, 0x4000, v160
	v_cmp_lt_u32_e64 s0, 0x63, v92
	v_mul_u32_u24_e32 v35, 0xc80, v35
	v_add_f64 v[113:114], v[127:128], v[36:37]
	v_add_f64 v[36:37], v[127:128], -v[36:37]
	v_mul_u32_u24_e32 v38, 0xc80, v38
	v_add_f64 v[117:118], v[22:23], v[39:40]
	v_add_f64 v[21:22], v[22:23], -v[39:40]
	v_add_f64 v[32:33], v[62:63], v[43:44]
	v_add_f64 v[43:44], v[62:63], -v[43:44]
	;; [unrolled: 2-line block ×4, first 2 shown]
	v_add_f64 v[64:65], v[0:1], v[2:3]
	v_add_f64 v[121:122], v[24:25], v[50:51]
	v_add_f64 v[23:24], v[24:25], -v[50:51]
	v_add_f64 v[127:128], v[54:55], v[71:72]
	v_add_f64 v[54:55], v[54:55], -v[71:72]
	v_add_f64 v[129:130], v[66:67], v[73:74]
	v_add_f64 v[133:134], v[58:59], v[75:76]
	;; [unrolled: 1-line block ×3, first 2 shown]
	v_add_f64 v[66:67], v[66:67], -v[73:74]
	v_add_f64 v[58:59], v[58:59], -v[75:76]
	;; [unrolled: 1-line block ×3, first 2 shown]
	v_add_f64 v[75:76], v[60:61], v[79:80]
	v_add_f64 v[60:61], v[60:61], -v[79:80]
	v_add_f64 v[77:78], v[69:70], v[81:82]
	v_add_f64 v[79:80], v[52:53], v[87:88]
	;; [unrolled: 1-line block ×3, first 2 shown]
	v_add_f64 v[69:70], v[69:70], -v[81:82]
	v_add_f64 v[81:82], v[56:57], v[111:112]
	v_add_f64 v[19:20], v[19:20], -v[41:42]
	v_add_f64 v[51:52], v[52:53], -v[87:88]
	v_add_f64 v[56:57], v[56:57], -v[111:112]
	ds_store_2addr_b64 v27, v[10:11], v[113:114] offset1:10
	ds_store_2addr_b64 v27, v[115:116], v[117:118] offset0:20 offset1:30
	ds_store_2addr_b64 v27, v[119:120], v[8:9] offset0:40 offset1:50
	;; [unrolled: 1-line block ×4, first 2 shown]
	ds_store_2addr_b64 v89, v[30:31], v[32:33] offset1:10
	ds_store_2addr_b64 v89, v[39:40], v[121:122] offset0:20 offset1:30
	ds_store_2addr_b64 v89, v[123:124], v[6:7] offset0:40 offset1:50
	;; [unrolled: 1-line block ×4, first 2 shown]
	s_waitcnt lgkmcnt(0)
	s_barrier
	buffer_gl0_inv
	ds_load_b64 v[12:13], v93
	ds_load_b64 v[8:9], v90
	;; [unrolled: 1-line block ×5, first 2 shown]
	ds_load_b64 v[87:88], v160 offset:24320
	ds_load_2addr_stride64_b64 v[0:3], v160 offset1:15
	ds_load_2addr_b64 v[22:25], v26 offset0:32 offset1:192
	ds_load_2addr_b64 v[4:7], v84 offset0:32 offset1:192
	;; [unrolled: 1-line block ×6, first 2 shown]
	s_waitcnt lgkmcnt(0)
	s_barrier
	buffer_gl0_inv
	ds_store_2addr_b64 v27, v[62:63], v[127:128] offset1:10
	ds_store_2addr_b64 v27, v[129:130], v[133:134] offset0:20 offset1:30
	ds_store_2addr_b64 v27, v[71:72], v[16:17] offset0:40 offset1:50
	;; [unrolled: 1-line block ×4, first 2 shown]
	ds_store_2addr_b64 v89, v[64:65], v[75:76] offset1:10
	ds_store_2addr_b64 v89, v[77:78], v[79:80] offset0:20 offset1:30
	ds_store_2addr_b64 v89, v[81:82], v[125:126] offset0:40 offset1:50
	;; [unrolled: 1-line block ×4, first 2 shown]
	v_and_b32_e32 v16, 0xffff, v83
	v_lshlrev_b32_e32 v27, 4, v91
	v_lshrrev_b16 v17, 2, v98
	s_waitcnt lgkmcnt(0)
	s_barrier
	v_mul_u32_u24_e32 v20, 3, v16
	buffer_gl0_inv
	s_clause 0x2
	global_load_b128 v[51:54], v[131:132], off offset:1472
	global_load_b128 v[55:58], v27, s[4:5] offset:1472
	global_load_b128 v[59:62], v27, s[4:5] offset:1456
	v_and_b32_e32 v17, 0xffff, v17
	v_lshrrev_b16 v19, 2, v101
	v_lshlrev_b32_e32 v67, 4, v20
	v_lshlrev_b32_e32 v107, 3, v16
	s_delay_alu instid0(VALU_DEP_4) | instskip(NEXT) | instid1(VALU_DEP_4)
	v_mul_u32_u24_e32 v17, 0x147b, v17
	v_and_b32_e32 v19, 0xffff, v19
	s_clause 0x1
	global_load_b128 v[63:66], v67, s[4:5] offset:1456
	global_load_b128 v[69:72], v67, s[4:5] offset:1440
	v_add3_u32 v107, 0, v38, v107
	v_lshrrev_b32_e32 v17, 17, v17
	v_mul_u32_u24_e32 v19, 0x147b, v19
	s_delay_alu instid0(VALU_DEP_2) | instskip(NEXT) | instid1(VALU_DEP_2)
	v_mul_lo_u16 v21, 0x64, v17
	v_lshrrev_b32_e32 v20, 17, v19
	v_mul_u32_u24_e32 v99, 0xc80, v17
	s_delay_alu instid0(VALU_DEP_3) | instskip(NEXT) | instid1(VALU_DEP_3)
	v_sub_nc_u16 v19, v98, v21
	v_mul_lo_u16 v21, 0x64, v20
	v_mul_u32_u24_e32 v104, 0xc80, v20
	s_delay_alu instid0(VALU_DEP_3) | instskip(NEXT) | instid1(VALU_DEP_3)
	v_and_b32_e32 v19, 0xffff, v19
	v_sub_nc_u16 v21, v101, v21
	s_delay_alu instid0(VALU_DEP_2) | instskip(NEXT) | instid1(VALU_DEP_2)
	v_mul_u32_u24_e32 v73, 3, v19
	v_and_b32_e32 v21, 0xffff, v21
	v_lshlrev_b32_e32 v109, 3, v19
	s_delay_alu instid0(VALU_DEP_3) | instskip(NEXT) | instid1(VALU_DEP_3)
	v_lshlrev_b32_e32 v81, 4, v73
	v_mul_u32_u24_e32 v77, 3, v21
	s_delay_alu instid0(VALU_DEP_3)
	v_add3_u32 v99, 0, v99, v109
	global_load_b128 v[73:76], v81, s[4:5] offset:1440
	v_lshlrev_b32_e32 v82, 4, v77
	s_clause 0x8
	global_load_b128 v[77:80], v67, s[4:5] offset:1472
	global_load_b128 v[111:114], v81, s[4:5] offset:1472
	global_load_b128 v[115:118], v[131:132], off offset:1456
	global_load_b128 v[119:122], v82, s[4:5] offset:1440
	global_load_b128 v[123:126], v81, s[4:5] offset:1456
	;; [unrolled: 1-line block ×3, first 2 shown]
	global_load_b128 v[131:134], v[131:132], off offset:1440
	global_load_b128 v[135:138], v27, s[4:5] offset:1440
	global_load_b128 v[139:142], v82, s[4:5] offset:1472
	ds_load_2addr_b64 v[165:168], v84 offset0:32 offset1:192
	ds_load_2addr_b64 v[169:172], v110 offset0:32 offset1:192
	;; [unrolled: 1-line block ×6, first 2 shown]
	v_cndmask_b32_e64 v27, 0, 0xc80, s0
	v_cmp_gt_u32_e64 s0, 0x50, v92
	ds_load_b64 v[201:202], v161
	s_waitcnt vmcnt(14) lgkmcnt(6)
	v_mul_f64 v[81:82], v[165:166], v[53:54]
	v_mul_f64 v[53:54], v[4:5], v[53:54]
	s_waitcnt vmcnt(13)
	v_mul_f64 v[189:190], v[167:168], v[57:58]
	v_mul_f64 v[57:58], v[6:7], v[57:58]
	s_waitcnt vmcnt(12) lgkmcnt(5)
	v_mul_f64 v[191:192], v[169:170], v[61:62]
	v_mul_f64 v[61:62], v[30:31], v[61:62]
	s_waitcnt vmcnt(11)
	v_mul_f64 v[193:194], v[171:172], v[65:66]
	v_mul_f64 v[65:66], v[32:33], v[65:66]
	s_waitcnt vmcnt(10) lgkmcnt(4)
	v_mul_f64 v[195:196], v[173:174], v[71:72]
	v_fma_f64 v[81:82], v[4:5], v[51:52], -v[81:82]
	v_fma_f64 v[51:52], v[165:166], v[51:52], v[53:54]
	v_mul_f64 v[53:54], v[39:40], v[71:72]
	v_fma_f64 v[71:72], v[6:7], v[55:56], -v[189:190]
	v_fma_f64 v[55:56], v[167:168], v[55:56], v[57:58]
	s_waitcnt vmcnt(8) lgkmcnt(3)
	v_mul_f64 v[57:58], v[177:178], v[79:80]
	s_waitcnt vmcnt(7)
	v_mul_f64 v[167:168], v[179:180], v[113:114]
	v_fma_f64 v[30:31], v[30:31], v[59:60], -v[191:192]
	v_fma_f64 v[59:60], v[169:170], v[59:60], v[61:62]
	s_waitcnt vmcnt(5) lgkmcnt(2)
	v_mul_f64 v[61:62], v[181:182], v[121:122]
	v_fma_f64 v[32:33], v[32:33], v[63:64], -v[193:194]
	s_waitcnt vmcnt(3) lgkmcnt(1)
	v_mul_f64 v[193:194], v[187:188], v[129:130]
	ds_load_b64 v[165:166], v29
	ds_load_b64 v[169:170], v160 offset:24320
	ds_load_2addr_stride64_b64 v[4:7], v160 offset1:15
	v_mul_f64 v[197:198], v[183:184], v[117:118]
	v_fma_f64 v[63:64], v[171:172], v[63:64], v[65:66]
	ds_load_b64 v[65:66], v162
	v_fma_f64 v[39:40], v[39:40], v[69:70], -v[195:196]
	v_mul_f64 v[79:80], v[43:44], v[79:80]
	v_mul_f64 v[191:192], v[185:186], v[125:126]
	;; [unrolled: 1-line block ×4, first 2 shown]
	s_waitcnt vmcnt(2) lgkmcnt(3)
	v_mul_f64 v[171:172], v[165:166], v[133:134]
	v_mul_f64 v[133:134], v[36:37], v[133:134]
	s_waitcnt vmcnt(1) lgkmcnt(1)
	v_mul_f64 v[199:200], v[6:7], v[137:138]
	v_fma_f64 v[53:54], v[173:174], v[69:70], v[53:54]
	s_waitcnt vmcnt(0)
	v_mul_f64 v[69:70], v[169:170], v[141:142]
	v_fma_f64 v[43:44], v[43:44], v[77:78], -v[57:58]
	v_fma_f64 v[57:58], v[45:46], v[111:112], -v[167:168]
	v_mul_f64 v[45:46], v[45:46], v[113:114]
	v_mul_f64 v[113:114], v[24:25], v[117:118]
	;; [unrolled: 1-line block ×4, first 2 shown]
	v_fma_f64 v[61:62], v[22:23], v[119:120], -v[61:62]
	v_mul_f64 v[22:23], v[22:23], v[121:122]
	v_fma_f64 v[121:122], v[49:50], v[127:128], -v[193:194]
	v_mul_f64 v[49:50], v[49:50], v[129:130]
	v_mul_f64 v[129:130], v[87:88], v[141:142]
	v_fma_f64 v[24:25], v[24:25], v[115:116], -v[197:198]
	v_add_f64 v[30:31], v[12:13], -v[30:31]
	v_add_f64 v[32:33], v[14:15], -v[32:33]
	v_fma_f64 v[77:78], v[177:178], v[77:78], v[79:80]
	v_fma_f64 v[47:48], v[47:48], v[123:124], -v[191:192]
	v_fma_f64 v[41:42], v[41:42], v[73:74], -v[189:190]
	v_fma_f64 v[73:74], v[175:176], v[73:74], v[75:76]
	v_add_f64 v[63:64], v[201:202], -v[63:64]
	v_fma_f64 v[36:37], v[36:37], v[131:132], -v[171:172]
	v_fma_f64 v[2:3], v[2:3], v[135:136], -v[199:200]
	;; [unrolled: 1-line block ×3, first 2 shown]
	v_fma_f64 v[87:88], v[165:166], v[131:132], v[133:134]
	v_add_f64 v[43:44], v[39:40], -v[43:44]
	v_lshlrev_b32_e32 v131, 3, v21
	v_fma_f64 v[45:46], v[179:180], v[111:112], v[45:46]
	v_fma_f64 v[113:114], v[183:184], v[115:116], v[113:114]
	;; [unrolled: 1-line block ×4, first 2 shown]
	ds_load_b64 v[115:116], v93
	ds_load_b64 v[117:118], v90
	v_fma_f64 v[22:23], v[181:182], v[119:120], v[22:23]
	v_add_f64 v[111:112], v[10:11], -v[121:122]
	v_fma_f64 v[49:50], v[187:188], v[127:128], v[49:50]
	v_fma_f64 v[79:80], v[169:170], v[139:140], v[129:130]
	v_add_f64 v[24:25], v[0:1], -v[24:25]
	v_fma_f64 v[119:120], v[12:13], 2.0, -v[30:31]
	v_mul_u32_u24_e32 v12, 3, v92
	v_add_f64 v[77:78], v[53:54], -v[77:78]
	v_add_f64 v[47:48], v[8:9], -v[47:48]
	;; [unrolled: 1-line block ×3, first 2 shown]
	v_fma_f64 v[13:14], v[14:15], 2.0, -v[32:33]
	v_add_nc_u32_e32 v15, 0xffffffb0, v92
	v_lshlrev_b32_e32 v67, 4, v12
	v_add3_u32 v104, 0, v104, v131
	s_waitcnt lgkmcnt(0)
	s_barrier
	v_cndmask_b32_e64 v12, v15, v100, s0
	v_lshlrev_b32_e32 v15, 3, v68
	v_add_f64 v[59:60], v[115:116], -v[59:60]
	v_add_co_u32 v83, s0, s4, v67
	v_add_f64 v[81:82], v[36:37], -v[81:82]
	v_add_f64 v[71:72], v[2:3], -v[71:72]
	v_add3_u32 v91, 0, v27, v15
	v_mul_i32_i24_e32 v27, 3, v96
	v_add_co_ci_u32_e64 v89, null, s5, 0, s0
	v_add_co_u32 v121, s0, 0x1860, v83
	v_add_f64 v[69:70], v[61:62], -v[69:70]
	v_add_f64 v[51:52], v[87:88], -v[51:52]
	v_fma_f64 v[39:40], v[39:40], 2.0, -v[43:44]
	v_add_f64 v[43:44], v[63:64], v[43:44]
	v_add_f64 v[45:46], v[73:74], -v[45:46]
	v_add_f64 v[113:114], v[4:5], -v[113:114]
	;; [unrolled: 1-line block ×4, first 2 shown]
	v_lshlrev_b64 v[123:124], 4, v[27:28]
	v_mul_i32_i24_e32 v27, 3, v12
	v_fma_f64 v[10:11], v[10:11], 2.0, -v[111:112]
	v_add_f64 v[49:50], v[65:66], -v[49:50]
	v_add_f64 v[79:80], v[22:23], -v[79:80]
	v_fma_f64 v[0:1], v[0:1], 2.0, -v[24:25]
	v_lshlrev_b64 v[125:126], 4, v[27:28]
	v_lshlrev_b32_e32 v27, 3, v18
	v_fma_f64 v[53:54], v[53:54], 2.0, -v[77:78]
	v_fma_f64 v[8:9], v[8:9], 2.0, -v[47:48]
	;; [unrolled: 1-line block ×3, first 2 shown]
	v_add_f64 v[77:78], v[32:33], -v[77:78]
	v_add3_u32 v27, 0, v35, v27
	v_add_co_ci_u32_e64 v122, s0, 0, v89, s0
	v_add_nc_u32_e32 v97, 0x400, v91
	buffer_gl0_inv
	v_add_nc_u32_e32 v109, 0x400, v27
	v_lshlrev_b32_e32 v12, 3, v12
	v_fma_f64 v[36:37], v[36:37], 2.0, -v[81:82]
	v_fma_f64 v[2:3], v[2:3], 2.0, -v[71:72]
	v_add_f64 v[71:72], v[59:60], v[71:72]
	v_fma_f64 v[61:62], v[61:62], 2.0, -v[69:70]
	v_add_f64 v[67:68], v[24:25], -v[51:52]
	v_fma_f64 v[51:52], v[87:88], 2.0, -v[51:52]
	v_fma_f64 v[87:88], v[115:116], 2.0, -v[59:60]
	v_fma_f64 v[115:116], v[201:202], 2.0, -v[63:64]
	v_fma_f64 v[4:5], v[4:5], 2.0, -v[113:114]
	v_fma_f64 v[117:118], v[117:118], 2.0, -v[75:76]
	v_fma_f64 v[6:7], v[6:7], 2.0, -v[55:56]
	v_fma_f64 v[73:74], v[73:74], 2.0, -v[45:46]
	v_add_f64 v[45:46], v[47:48], -v[45:46]
	v_add_f64 v[81:82], v[113:114], v[81:82]
	v_fma_f64 v[65:66], v[65:66], 2.0, -v[49:50]
	v_fma_f64 v[22:23], v[22:23], 2.0, -v[79:80]
	v_add_f64 v[55:56], v[30:31], -v[55:56]
	v_add_f64 v[39:40], v[13:14], -v[39:40]
	v_add_f64 v[57:58], v[75:76], v[57:58]
	v_add_f64 v[79:80], v[111:112], -v[79:80]
	v_add_f64 v[69:70], v[49:50], v[69:70]
	v_add_f64 v[41:42], v[8:9], -v[41:42]
	v_fma_f64 v[19:20], v[32:33], 2.0, -v[77:78]
	v_fma_f64 v[63:64], v[63:64], 2.0, -v[43:44]
	v_add_f64 v[36:37], v[0:1], -v[36:37]
	v_add_f64 v[2:3], v[119:120], -v[2:3]
	v_fma_f64 v[59:60], v[59:60], 2.0, -v[71:72]
	v_add_f64 v[61:62], v[10:11], -v[61:62]
	v_add_f64 v[53:54], v[115:116], -v[53:54]
	;; [unrolled: 1-line block ×5, first 2 shown]
	v_fma_f64 v[6:7], v[24:25], 2.0, -v[67:68]
	v_add_co_u32 v25, s0, s4, v123
	v_add_f64 v[129:130], v[65:66], -v[22:23]
	v_fma_f64 v[21:22], v[47:48], 2.0, -v[45:46]
	v_fma_f64 v[47:48], v[113:114], 2.0, -v[81:82]
	v_fma_f64 v[15:16], v[30:31], 2.0, -v[55:56]
	v_fma_f64 v[13:14], v[13:14], 2.0, -v[39:40]
	v_fma_f64 v[75:76], v[75:76], 2.0, -v[57:58]
	v_fma_f64 v[8:9], v[8:9], 2.0, -v[41:42]
	v_fma_f64 v[23:24], v[111:112], 2.0, -v[79:80]
	v_fma_f64 v[49:50], v[49:50], 2.0, -v[69:70]
	v_add_nc_u32_e32 v123, 0x400, v104
	v_add_co_ci_u32_e64 v132, s0, s5, v124, s0
	v_add_co_u32 v111, s0, 0x1860, v25
	s_delay_alu instid0(VALU_DEP_1)
	v_add_co_ci_u32_e64 v112, s0, 0, v132, s0
	v_fma_f64 v[0:1], v[0:1], 2.0, -v[36:37]
	v_fma_f64 v[17:18], v[119:120], 2.0, -v[2:3]
	v_add_nc_u32_e32 v119, 0x400, v107
	v_add_nc_u32_e32 v120, 0x400, v99
	v_fma_f64 v[10:11], v[10:11], 2.0, -v[61:62]
	ds_store_2addr_b64 v97, v[36:37], v[67:68] offset0:72 offset1:172
	ds_store_2addr_b64 v91, v[0:1], v[6:7] offset1:100
	ds_store_2addr_b64 v27, v[17:18], v[15:16] offset1:100
	ds_store_2addr_b64 v109, v[2:3], v[55:56] offset0:72 offset1:172
	ds_store_2addr_b64 v107, v[13:14], v[19:20] offset1:100
	ds_store_2addr_b64 v119, v[39:40], v[77:78] offset0:72 offset1:172
	;; [unrolled: 2-line block ×4, first 2 shown]
	v_fma_f64 v[113:114], v[4:5], 2.0, -v[51:52]
	v_fma_f64 v[87:88], v[87:88], 2.0, -v[127:128]
	;; [unrolled: 1-line block ×5, first 2 shown]
	s_waitcnt lgkmcnt(0)
	s_barrier
	buffer_gl0_inv
	ds_load_2addr_stride64_b64 v[0:3], v160 offset1:15
	ds_load_2addr_b64 v[13:16], v26 offset0:32 offset1:192
	ds_load_b64 v[8:9], v93
	ds_load_b64 v[4:5], v90
	;; [unrolled: 1-line block ×5, first 2 shown]
	ds_load_b64 v[179:180], v160 offset:24320
	ds_load_2addr_b64 v[17:20], v84 offset0:32 offset1:192
	ds_load_2addr_b64 v[21:24], v110 offset0:32 offset1:192
	ds_load_2addr_b64 v[30:33], v34 offset0:32 offset1:192
	ds_load_2addr_b64 v[35:38], v85 offset0:32 offset1:192
	ds_load_2addr_b64 v[39:42], v86 offset0:32 offset1:192
	s_waitcnt lgkmcnt(0)
	s_barrier
	buffer_gl0_inv
	ds_store_2addr_b64 v91, v[113:114], v[47:48] offset1:100
	ds_store_2addr_b64 v97, v[51:52], v[81:82] offset0:72 offset1:172
	ds_store_2addr_b64 v27, v[87:88], v[59:60] offset1:100
	ds_store_2addr_b64 v109, v[127:128], v[71:72] offset0:72 offset1:172
	ds_store_2addr_b64 v107, v[115:116], v[63:64] offset1:100
	ds_store_2addr_b64 v119, v[53:54], v[43:44] offset0:72 offset1:172
	ds_store_2addr_b64 v99, v[117:118], v[75:76] offset1:100
	ds_store_2addr_b64 v120, v[73:74], v[57:58] offset0:72 offset1:172
	ds_store_2addr_b64 v104, v[65:66], v[49:50] offset1:100
	ds_store_2addr_b64 v123, v[129:130], v[69:70] offset0:72 offset1:172
	s_waitcnt lgkmcnt(0)
	s_barrier
	buffer_gl0_inv
	global_load_b128 v[43:46], v[121:122], off offset:32
	v_add_co_u32 v27, s0, s4, v125
	s_delay_alu instid0(VALU_DEP_1) | instskip(SKIP_2) | instid1(VALU_DEP_1)
	v_add_co_ci_u32_e64 v57, s0, s5, v126, s0
	global_load_b128 v[47:50], v[111:112], off offset:32
	v_add_co_u32 v51, s0, 0x1000, v27
	v_add_co_ci_u32_e64 v52, s0, 0, v57, s0
	v_add_co_u32 v55, s0, 0x2000, v83
	s_delay_alu instid0(VALU_DEP_1) | instskip(SKIP_2) | instid1(VALU_DEP_1)
	v_add_co_ci_u32_e64 v56, s0, 0, v89, s0
	global_load_b128 v[51:54], v[51:52], off offset:2144
	v_add_co_u32 v87, s0, 0x2760, v83
	v_add_co_ci_u32_e64 v88, s0, 0, v89, s0
	v_add_co_u32 v71, s0, 0x1860, v27
	s_delay_alu instid0(VALU_DEP_1) | instskip(SKIP_1) | instid1(VALU_DEP_1)
	v_add_co_ci_u32_e64 v72, s0, 0, v57, s0
	v_add_co_u32 v79, s0, 0x4000, v83
	v_add_co_ci_u32_e64 v80, s0, 0, v89, s0
	v_add_co_u32 v123, s0, 0x4560, v83
	s_delay_alu instid0(VALU_DEP_1) | instskip(SKIP_1) | instid1(VALU_DEP_1)
	v_add_co_ci_u32_e64 v124, s0, 0, v89, s0
	v_add_co_u32 v119, s0, 0x1000, v83
	v_add_co_ci_u32_e64 v120, s0, 0, v89, s0
	s_clause 0xa
	global_load_b128 v[55:58], v[55:56], off offset:1888
	global_load_b128 v[59:62], v[87:88], off offset:32
	;; [unrolled: 1-line block ×11, first 2 shown]
	v_add_co_u32 v87, s0, 0x1000, v25
	s_delay_alu instid0(VALU_DEP_1)
	v_add_co_ci_u32_e64 v88, s0, 0, v132, s0
	v_cmp_lt_u32_e64 s0, 0x4f, v92
	v_lshl_add_u32 v27, v92, 3, 0
	global_load_b128 v[127:130], v[87:88], off offset:2144
	ds_load_2addr_b64 v[131:134], v84 offset0:32 offset1:192
	ds_load_2addr_b64 v[135:138], v34 offset0:32 offset1:192
	ds_load_2addr_b64 v[139:142], v85 offset0:32 offset1:192
	ds_load_2addr_b64 v[165:168], v110 offset0:32 offset1:192
	ds_load_2addr_b64 v[169:172], v26 offset0:32 offset1:192
	ds_load_2addr_b64 v[173:176], v86 offset0:32 offset1:192
	ds_load_b64 v[25:26], v29
	ds_load_b64 v[187:188], v160 offset:24320
	v_add_nc_u32_e32 v89, 0x4000, v27
	v_add_nc_u32_e32 v91, 0x4c00, v27
	s_waitcnt vmcnt(14) lgkmcnt(7)
	v_mul_f64 v[87:88], v[131:132], v[45:46]
	v_mul_f64 v[45:46], v[17:18], v[45:46]
	s_waitcnt vmcnt(13)
	v_mul_f64 v[181:182], v[133:134], v[49:50]
	v_mul_f64 v[49:50], v[19:20], v[49:50]
	s_waitcnt vmcnt(12) lgkmcnt(6)
	v_mul_f64 v[183:184], v[135:136], v[53:54]
	v_mul_f64 v[53:54], v[30:31], v[53:54]
	s_waitcnt vmcnt(11)
	v_mul_f64 v[185:186], v[137:138], v[57:58]
	s_waitcnt vmcnt(10) lgkmcnt(5)
	v_mul_f64 v[191:192], v[141:142], v[61:62]
	s_waitcnt vmcnt(9) lgkmcnt(4)
	v_mul_f64 v[193:194], v[165:166], v[65:66]
	s_waitcnt vmcnt(8)
	v_mul_f64 v[189:190], v[139:140], v[69:70]
	s_waitcnt vmcnt(7)
	v_mul_f64 v[195:196], v[167:168], v[73:74]
	s_waitcnt vmcnt(4) lgkmcnt(2)
	v_mul_f64 v[197:198], v[173:174], v[113:114]
	s_waitcnt vmcnt(2) lgkmcnt(1)
	v_mul_f64 v[201:202], v[25:26], v[121:122]
	v_fma_f64 v[17:18], v[17:18], v[43:44], -v[87:88]
	v_fma_f64 v[87:88], v[131:132], v[43:44], v[45:46]
	ds_load_2addr_stride64_b64 v[43:46], v160 offset1:15
	v_mul_f64 v[131:132], v[171:172], v[77:78]
	v_fma_f64 v[19:20], v[19:20], v[47:48], -v[181:182]
	v_mul_f64 v[181:182], v[169:170], v[81:82]
	v_fma_f64 v[47:48], v[133:134], v[47:48], v[49:50]
	v_mul_f64 v[49:50], v[175:176], v[117:118]
	ds_load_b64 v[133:134], v161
	ds_load_b64 v[199:200], v162
	v_fma_f64 v[30:31], v[30:31], v[51:52], -v[183:184]
	v_fma_f64 v[51:52], v[135:136], v[51:52], v[53:54]
	s_waitcnt vmcnt(1) lgkmcnt(3)
	v_mul_f64 v[53:54], v[187:188], v[125:126]
	v_mul_f64 v[125:126], v[179:180], v[125:126]
	s_waitcnt vmcnt(0) lgkmcnt(2)
	v_mul_f64 v[135:136], v[45:46], v[129:130]
	v_fma_f64 v[183:184], v[32:33], v[55:56], -v[185:186]
	v_mul_f64 v[32:33], v[32:33], v[57:58]
	v_mul_f64 v[57:58], v[35:36], v[69:70]
	v_fma_f64 v[34:35], v[35:36], v[67:68], -v[189:190]
	v_fma_f64 v[69:70], v[37:38], v[59:60], -v[191:192]
	v_mul_f64 v[36:37], v[37:38], v[61:62]
	v_mul_f64 v[61:62], v[21:22], v[65:66]
	v_fma_f64 v[65:66], v[23:24], v[71:72], -v[195:196]
	v_mul_f64 v[23:24], v[23:24], v[73:74]
	v_mul_f64 v[73:74], v[15:16], v[77:78]
	v_fma_f64 v[15:16], v[15:16], v[75:76], -v[131:132]
	v_fma_f64 v[21:22], v[21:22], v[63:64], -v[193:194]
	v_fma_f64 v[77:78], v[13:14], v[79:80], -v[181:182]
	v_mul_f64 v[13:14], v[13:14], v[81:82]
	v_mul_f64 v[81:82], v[39:40], v[113:114]
	;; [unrolled: 1-line block ×4, first 2 shown]
	v_fma_f64 v[38:39], v[39:40], v[111:112], -v[197:198]
	v_fma_f64 v[49:50], v[41:42], v[115:116], -v[49:50]
	v_mul_f64 v[40:41], v[41:42], v[117:118]
	v_fma_f64 v[117:118], v[177:178], v[119:120], -v[201:202]
	v_fma_f64 v[53:54], v[179:180], v[123:124], -v[53:54]
	;; [unrolled: 1-line block ×3, first 2 shown]
	v_fma_f64 v[32:33], v[137:138], v[55:56], v[32:33]
	v_fma_f64 v[55:56], v[139:140], v[67:68], v[57:58]
	v_add_f64 v[34:35], v[30:31], -v[34:35]
	v_add_f64 v[67:68], v[183:184], -v[69:70]
	v_fma_f64 v[36:37], v[141:142], v[59:60], v[36:37]
	v_fma_f64 v[61:62], v[165:166], v[63:64], v[61:62]
	;; [unrolled: 1-line block ×5, first 2 shown]
	v_add_f64 v[15:16], v[0:1], -v[15:16]
	v_add_f64 v[21:22], v[8:9], -v[21:22]
	;; [unrolled: 1-line block ×3, first 2 shown]
	ds_load_b64 v[69:70], v93
	ds_load_b64 v[71:72], v90
	v_fma_f64 v[13:14], v[169:170], v[79:80], v[13:14]
	v_fma_f64 v[63:64], v[173:174], v[111:112], v[81:82]
	;; [unrolled: 1-line block ×4, first 2 shown]
	v_add_f64 v[38:39], v[4:5], -v[38:39]
	v_add_f64 v[49:50], v[6:7], -v[49:50]
	v_fma_f64 v[40:41], v[175:176], v[115:116], v[40:41]
	v_add_f64 v[17:18], v[117:118], -v[17:18]
	s_waitcnt lgkmcnt(0)
	v_add_f64 v[53:54], v[77:78], -v[53:54]
	s_barrier
	buffer_gl0_inv
	v_add_f64 v[19:20], v[2:3], -v[19:20]
	v_add_f64 v[55:56], v[51:52], -v[55:56]
	v_fma_f64 v[30:31], v[30:31], 2.0, -v[34:35]
	v_fma_f64 v[79:80], v[183:184], 2.0, -v[67:68]
	v_add_f64 v[36:37], v[32:33], -v[36:37]
	v_add_f64 v[61:62], v[69:70], -v[61:62]
	;; [unrolled: 1-line block ×4, first 2 shown]
	v_fma_f64 v[0:1], v[0:1], 2.0, -v[15:16]
	v_fma_f64 v[8:9], v[8:9], 2.0, -v[21:22]
	;; [unrolled: 1-line block ×3, first 2 shown]
	v_add_f64 v[59:60], v[13:14], -v[59:60]
	v_add_f64 v[63:64], v[71:72], -v[63:64]
	;; [unrolled: 1-line block ×4, first 2 shown]
	v_fma_f64 v[4:5], v[4:5], 2.0, -v[38:39]
	v_fma_f64 v[6:7], v[6:7], 2.0, -v[49:50]
	v_add_f64 v[40:41], v[199:200], -v[40:41]
	v_fma_f64 v[75:76], v[117:118], 2.0, -v[17:18]
	v_fma_f64 v[77:78], v[77:78], 2.0, -v[53:54]
	;; [unrolled: 1-line block ×4, first 2 shown]
	v_add_f64 v[55:56], v[65:66], -v[55:56]
	v_fma_f64 v[32:33], v[32:33], 2.0, -v[36:37]
	v_fma_f64 v[69:70], v[69:70], 2.0, -v[61:62]
	v_add_f64 v[36:37], v[38:39], -v[36:37]
	v_add_f64 v[115:116], v[61:62], v[19:20]
	v_fma_f64 v[42:43], v[43:44], 2.0, -v[57:58]
	v_add_f64 v[113:114], v[57:58], v[17:18]
	v_add_f64 v[34:35], v[23:24], v[34:35]
	v_add_f64 v[111:112], v[10:11], -v[30:31]
	v_lshl_add_u32 v30, v105, 3, 0
	v_fma_f64 v[13:14], v[13:14], 2.0, -v[59:60]
	v_fma_f64 v[71:72], v[71:72], 2.0, -v[63:64]
	;; [unrolled: 1-line block ×4, first 2 shown]
	v_add_f64 v[81:82], v[15:16], -v[73:74]
	v_fma_f64 v[73:74], v[133:134], 2.0, -v[23:24]
	v_fma_f64 v[87:88], v[199:200], 2.0, -v[40:41]
	v_add_f64 v[75:76], v[0:1], -v[75:76]
	v_add_f64 v[46:47], v[21:22], -v[47:48]
	;; [unrolled: 1-line block ×5, first 2 shown]
	v_add_f64 v[117:118], v[63:64], v[67:68]
	v_add_f64 v[53:54], v[40:41], v[53:54]
	v_lshl_add_u32 v31, v108, 3, 0
	v_add_f64 v[2:3], v[8:9], -v[2:3]
	v_fma_f64 v[17:18], v[65:66], 2.0, -v[55:56]
	v_fma_f64 v[19:20], v[38:39], 2.0, -v[36:37]
	v_cndmask_b32_e64 v38, 0, 0x3200, s0
	v_fma_f64 v[23:24], v[23:24], 2.0, -v[34:35]
	v_fma_f64 v[10:11], v[10:11], 2.0, -v[111:112]
	s_delay_alu instid0(VALU_DEP_3)
	v_add3_u32 v97, 0, v38, v12
	v_fma_f64 v[38:39], v[57:58], 2.0, -v[113:114]
	v_add_f64 v[32:33], v[71:72], -v[32:33]
	v_add_f64 v[25:26], v[42:43], -v[25:26]
	v_add_f64 v[44:45], v[69:70], -v[44:45]
	v_fma_f64 v[15:16], v[15:16], 2.0, -v[81:82]
	v_add_f64 v[51:52], v[73:74], -v[51:52]
	v_add_f64 v[119:120], v[87:88], -v[13:14]
	v_fma_f64 v[0:1], v[0:1], 2.0, -v[75:76]
	v_fma_f64 v[13:14], v[21:22], 2.0, -v[46:47]
	;; [unrolled: 1-line block ×6, first 2 shown]
	v_add_nc_u32_e32 v50, 0x3400, v27
	v_add_nc_u32_e32 v27, 0x5800, v27
	v_fma_f64 v[8:9], v[8:9], 2.0, -v[2:3]
	v_fma_f64 v[57:58], v[63:64], 2.0, -v[117:118]
	ds_store_b64 v160, v[15:16] offset:3200
	ds_store_b64 v160, v[81:82] offset:9600
	ds_store_b64 v160, v[75:76] offset:6400
	v_fma_f64 v[42:43], v[42:43], 2.0, -v[25:26]
	v_fma_f64 v[61:62], v[69:70], 2.0, -v[44:45]
	;; [unrolled: 1-line block ×4, first 2 shown]
	ds_store_b64 v160, v[0:1]
	ds_store_b64 v93, v[8:9]
	ds_store_b64 v93, v[13:14] offset:3200
	ds_store_b64 v93, v[2:3] offset:6400
	;; [unrolled: 1-line block ×3, first 2 shown]
	ds_store_b64 v97, v[10:11]
	ds_store_b64 v97, v[17:18] offset:3200
	ds_store_b64 v97, v[111:112] offset:6400
	ds_store_b64 v97, v[55:56] offset:9600
	ds_store_2addr_b64 v50, v[4:5], v[6:7] offset0:16 offset1:176
	ds_store_2addr_b64 v89, v[19:20], v[21:22] offset0:32 offset1:192
	;; [unrolled: 1-line block ×4, first 2 shown]
	s_waitcnt lgkmcnt(0)
	s_barrier
	buffer_gl0_inv
	ds_load_2addr_stride64_b64 v[0:3], v160 offset1:25
	ds_load_2addr_b64 v[12:15], v110 offset0:32 offset1:192
	ds_load_2addr_b64 v[8:11], v86 offset0:32 offset1:192
	;; [unrolled: 1-line block ×3, first 2 shown]
	ds_load_b64 v[66:67], v163
	ds_load_b64 v[64:65], v30
	;; [unrolled: 1-line block ×9, first 2 shown]
	ds_load_b64 v[82:83], v160 offset:24320
	ds_load_2addr_b64 v[16:19], v85 offset0:32 offset1:192
	v_fma_f64 v[87:88], v[87:88], 2.0, -v[119:120]
	v_fma_f64 v[40:41], v[40:41], 2.0, -v[53:54]
	s_waitcnt lgkmcnt(0)
	s_barrier
	buffer_gl0_inv
	ds_store_b64 v160, v[42:43]
	ds_store_b64 v160, v[38:39] offset:3200
	ds_store_b64 v160, v[25:26] offset:6400
	ds_store_b64 v160, v[113:114] offset:9600
	ds_store_b64 v93, v[61:62]
	ds_store_b64 v93, v[48:49] offset:3200
	ds_store_b64 v93, v[44:45] offset:6400
	ds_store_b64 v93, v[115:116] offset:9600
	ds_store_b64 v97, v[121:122]
	ds_store_b64 v97, v[23:24] offset:3200
	ds_store_b64 v97, v[51:52] offset:6400
	ds_store_b64 v97, v[34:35] offset:9600
	ds_store_2addr_b64 v50, v[123:124], v[87:88] offset0:16 offset1:176
	ds_store_2addr_b64 v89, v[57:58], v[40:41] offset0:32 offset1:192
	;; [unrolled: 1-line block ×4, first 2 shown]
	s_waitcnt lgkmcnt(0)
	s_barrier
	buffer_gl0_inv
	s_and_saveexec_b32 s0, vcc_lo
	s_cbranch_execz .LBB0_15
; %bb.14:
	v_mul_i32_i24_e32 v168, 0xffffffb8, v96
	v_mov_b32_e32 v109, v28
	v_mad_u64_u32 v[125:126], null, s8, v157, 0
	s_delay_alu instid0(VALU_DEP_3) | instskip(NEXT) | instid1(VALU_DEP_3)
	v_dual_mov_b32 v107, v28 :: v_dual_add_nc_u32 v168, v159, v168
	v_lshlrev_b64 v[20:21], 4, v[108:109]
	v_mov_b32_e32 v104, v28
	v_mad_u64_u32 v[129:130], null, s8, v158, 0
	s_delay_alu instid0(VALU_DEP_4) | instskip(SKIP_3) | instid1(VALU_DEP_4)
	v_lshlrev_b64 v[22:23], 4, v[106:107]
	v_mad_u64_u32 v[133:134], null, s8, v155, 0
	v_add_co_u32 v20, vcc_lo, s4, v20
	v_add_co_ci_u32_e32 v21, vcc_lo, s5, v21, vcc_lo
	v_add_co_u32 v22, vcc_lo, s4, v22
	v_add_co_ci_u32_e32 v23, vcc_lo, s5, v23, vcc_lo
	s_delay_alu instid0(VALU_DEP_4)
	v_add_co_u32 v20, vcc_lo, 0x6000, v20
	v_lshlrev_b64 v[32:33], 4, v[103:104]
	v_add_co_ci_u32_e32 v21, vcc_lo, 0, v21, vcc_lo
	v_add_co_u32 v22, vcc_lo, 0x6000, v22
	v_mov_b32_e32 v103, v28
	v_add_co_ci_u32_e32 v23, vcc_lo, 0, v23, vcc_lo
	v_add_co_u32 v34, vcc_lo, s4, v32
	v_add_co_ci_u32_e32 v35, vcc_lo, s5, v33, vcc_lo
	s_delay_alu instid0(VALU_DEP_4) | instskip(NEXT) | instid1(VALU_DEP_3)
	v_lshlrev_b64 v[32:33], 4, v[102:103]
	v_add_co_u32 v34, vcc_lo, 0x6000, v34
	v_mov_b32_e32 v97, v28
	s_delay_alu instid0(VALU_DEP_4) | instskip(NEXT) | instid1(VALU_DEP_4)
	v_add_co_ci_u32_e32 v35, vcc_lo, 0, v35, vcc_lo
	v_add_co_u32 v36, vcc_lo, s4, v32
	v_mad_u64_u32 v[137:138], null, s8, v156, 0
	v_mov_b32_e32 v93, v28
	v_add_co_ci_u32_e32 v37, vcc_lo, s5, v33, vcc_lo
	v_lshlrev_b64 v[32:33], 4, v[96:97]
	v_add_co_u32 v46, vcc_lo, 0x6000, v36
	s_delay_alu instid0(VALU_DEP_4) | instskip(NEXT) | instid1(VALU_DEP_4)
	v_lshlrev_b64 v[38:39], 4, v[92:93]
	v_add_co_ci_u32_e32 v47, vcc_lo, 0, v37, vcc_lo
	s_delay_alu instid0(VALU_DEP_4) | instskip(SKIP_4) | instid1(VALU_DEP_4)
	v_add_co_u32 v32, vcc_lo, s4, v32
	v_mov_b32_e32 v102, v28
	v_add_co_ci_u32_e32 v33, vcc_lo, s5, v33, vcc_lo
	v_add_co_u32 v38, vcc_lo, s4, v38
	v_add_co_ci_u32_e32 v39, vcc_lo, s5, v39, vcc_lo
	v_lshlrev_b64 v[36:37], 4, v[101:102]
	v_add_co_u32 v32, vcc_lo, 0x6000, v32
	v_add_co_ci_u32_e32 v33, vcc_lo, 0, v33, vcc_lo
	v_add_co_u32 v40, vcc_lo, 0x6000, v38
	v_mad_u64_u32 v[141:142], null, s8, v153, 0
	v_mov_b32_e32 v101, v28
	v_add_co_ci_u32_e32 v41, vcc_lo, 0, v39, vcc_lo
	v_add_co_u32 v50, vcc_lo, s4, v36
	v_mov_b32_e32 v99, v28
	v_add_co_ci_u32_e32 v51, vcc_lo, s5, v37, vcc_lo
	v_lshlrev_b64 v[48:49], 4, v[100:101]
	s_delay_alu instid0(VALU_DEP_4) | instskip(NEXT) | instid1(VALU_DEP_4)
	v_add_co_u32 v50, vcc_lo, 0x6000, v50
	v_lshlrev_b64 v[52:53], 4, v[98:99]
	s_delay_alu instid0(VALU_DEP_4)
	v_add_co_ci_u32_e32 v51, vcc_lo, 0, v51, vcc_lo
	v_mad_u64_u32 v[166:167], null, s8, v152, 0
	v_mov_b32_e32 v106, v28
	v_add_co_u32 v28, vcc_lo, s4, v48
	v_add_co_ci_u32_e32 v49, vcc_lo, s5, v49, vcc_lo
	v_add_co_u32 v52, vcc_lo, s4, v52
	v_add_co_ci_u32_e32 v53, vcc_lo, s5, v53, vcc_lo
	v_lshlrev_b64 v[44:45], 4, v[105:106]
	v_add_co_u32 v48, vcc_lo, 0x6000, v28
	v_add_co_ci_u32_e32 v49, vcc_lo, 0, v49, vcc_lo
	v_add_co_u32 v52, vcc_lo, 0x6000, v52
	v_add_co_ci_u32_e32 v53, vcc_lo, 0, v53, vcc_lo
	s_clause 0x3
	global_load_b128 v[24:27], v[20:21], off offset:864
	global_load_b128 v[20:23], v[22:23], off offset:864
	;; [unrolled: 1-line block ×4, first 2 shown]
	v_add_co_u32 v28, vcc_lo, s4, v44
	v_add_co_ci_u32_e32 v45, vcc_lo, s5, v45, vcc_lo
	s_clause 0x2
	global_load_b128 v[32:35], v[34:35], off offset:864
	global_load_b128 v[60:63], v[48:49], off offset:864
	;; [unrolled: 1-line block ×3, first 2 shown]
	v_add_co_u32 v44, vcc_lo, 0x6000, v28
	v_add_co_ci_u32_e32 v45, vcc_lo, 0, v45, vcc_lo
	s_clause 0x2
	global_load_b128 v[56:59], v[50:51], off offset:864
	global_load_b128 v[48:51], v[46:47], off offset:864
	;; [unrolled: 1-line block ×3, first 2 shown]
	v_mad_u64_u32 v[123:124], null, s8, v92, 0
	v_mad_u64_u32 v[127:128], null, s8, v147, 0
	ds_load_b64 v[96:97], v31
	ds_load_b64 v[108:109], v160 offset:24320
	ds_load_2addr_b64 v[104:107], v85 offset0:32 offset1:192
	ds_load_2addr_b64 v[111:114], v84 offset0:32 offset1:192
	ds_load_b64 v[84:85], v164
	ds_load_b64 v[88:89], v29
	ds_load_2addr_b64 v[115:118], v86 offset0:32 offset1:192
	ds_load_b64 v[86:87], v30
	ds_load_b64 v[100:101], v90
	;; [unrolled: 1-line block ×5, first 2 shown]
	ds_load_2addr_b64 v[119:122], v110 offset0:32 offset1:192
	ds_load_2addr_stride64_b64 v[28:31], v160 offset1:25
	v_mad_u64_u32 v[131:132], null, s8, v146, 0
	v_mad_u64_u32 v[135:136], null, s8, v151, 0
	v_mul_hi_u32 v170, 0x51eb851f, v145
	v_mad_u64_u32 v[162:163], null, s8, v154, 0
	v_mul_hi_u32 v171, 0x51eb851f, v150
	v_add_co_u32 v93, vcc_lo, s10, v94
	v_mul_hi_u32 v169, 0x51eb851f, v148
	v_add_co_ci_u32_e32 v94, vcc_lo, s11, v95, vcc_lo
	v_dual_mov_b32 v95, v124 :: v_dual_mov_b32 v110, v126
	v_mov_b32_e32 v124, v128
	v_mad_u64_u32 v[139:140], null, s8, v144, 0
	v_mad_u64_u32 v[160:161], null, s8, v149, 0
	;; [unrolled: 1-line block ×3, first 2 shown]
	v_mov_b32_e32 v126, v130
	v_mov_b32_e32 v128, v132
	;; [unrolled: 1-line block ×6, first 2 shown]
	v_lshrrev_b32_e32 v179, 9, v170
	v_mov_b32_e32 v142, v163
	v_lshrrev_b32_e32 v163, 9, v171
	s_waitcnt lgkmcnt(13)
	v_mad_u64_u32 v[170:171], null, s9, v92, v[95:96]
	s_waitcnt lgkmcnt(10)
	v_mad_u64_u32 v[171:172], null, s9, v157, v[110:111]
	v_lshrrev_b32_e32 v178, 9, v169
	v_mad_u64_u32 v[172:173], null, s9, v147, v[124:125]
	v_mad_u64_u32 v[173:174], null, s9, v158, v[126:127]
	;; [unrolled: 1-line block ×4, first 2 shown]
	v_mov_b32_e32 v136, v140
	v_mov_b32_e32 v140, v161
	;; [unrolled: 1-line block ×3, first 2 shown]
	v_mad_u64_u32 v[176:177], null, s9, v153, v[138:139]
	v_mad_u32_u24 v177, 0x640, v178, v148
	v_mov_b32_e32 v161, v167
	v_mad_u32_u24 v178, 0x640, v179, v145
	v_mad_u64_u32 v[157:158], null, s9, v146, v[128:129]
	v_mad_u64_u32 v[146:147], null, s9, v155, v[130:131]
	v_mad_u32_u24 v179, 0x640, v163, v150
	v_mad_u64_u32 v[147:148], null, s9, v154, v[142:143]
	v_mad_u64_u32 v[155:156], null, s9, v144, v[136:137]
	;; [unrolled: 1-line block ×8, first 2 shown]
	s_delay_alu instid0(VALU_DEP_4) | instskip(SKIP_1) | instid1(VALU_DEP_4)
	v_dual_mov_b32 v163, v147 :: v_dual_mov_b32 v92, v150
	v_dual_mov_b32 v165, v148 :: v_dual_add_nc_u32 v190, 0x640, v179
	v_dual_mov_b32 v124, v170 :: v_dual_mov_b32 v95, v152
	s_delay_alu instid0(VALU_DEP_4)
	v_mov_b32_e32 v110, v159
	v_dual_mov_b32 v161, v144 :: v_dual_add_nc_u32 v188, 0x640, v177
	v_dual_mov_b32 v167, v153 :: v_dual_mov_b32 v128, v172
	v_mov_b32_e32 v130, v173
	v_mov_b32_e32 v140, v155
	v_lshlrev_b64 v[154:155], 4, v[162:163]
	v_mad_u64_u32 v[162:163], null, s9, v177, v[92:93]
	v_mov_b32_e32 v132, v157
	v_lshlrev_b64 v[156:157], 4, v[164:165]
	v_mad_u64_u32 v[163:164], null, s9, v178, v[95:96]
	v_mad_u64_u32 v[164:165], null, s9, v179, v[110:111]
	v_dual_mov_b32 v126, v171 :: v_dual_add_nc_u32 v189, 0x640, v178
	v_mov_b32_e32 v136, v174
	v_mov_b32_e32 v138, v175
	v_lshlrev_b64 v[152:153], 4, v[160:161]
	v_lshlrev_b64 v[160:161], 4, v[166:167]
	v_mov_b32_e32 v159, v164
	v_mov_b32_e32 v142, v176
	ds_load_b64 v[168:169], v168
	v_lshlrev_b64 v[123:124], 4, v[123:124]
	v_lshlrev_b64 v[125:126], 4, v[125:126]
	;; [unrolled: 1-line block ×4, first 2 shown]
	v_mov_b32_e32 v134, v146
	v_lshlrev_b64 v[131:132], 4, v[131:132]
	v_add_co_u32 v123, vcc_lo, v93, v123
	v_add_co_ci_u32_e32 v124, vcc_lo, v94, v124, vcc_lo
	v_add_co_u32 v125, vcc_lo, v93, v125
	v_add_co_ci_u32_e32 v126, vcc_lo, v94, v126, vcc_lo
	;; [unrolled: 2-line block ×3, first 2 shown]
	v_lshlrev_b64 v[133:134], 4, v[133:134]
	v_add_co_u32 v129, vcc_lo, v93, v129
	v_add_co_ci_u32_e32 v130, vcc_lo, v94, v130, vcc_lo
	v_lshlrev_b64 v[135:136], 4, v[135:136]
	v_add_co_u32 v131, vcc_lo, v93, v131
	v_add_co_ci_u32_e32 v132, vcc_lo, v94, v132, vcc_lo
	;; [unrolled: 3-line block ×3, first 2 shown]
	v_lshlrev_b64 v[139:140], 4, v[139:140]
	v_add_co_u32 v135, vcc_lo, v93, v135
	v_mad_u64_u32 v[145:146], null, s8, v189, 0
	v_add_co_ci_u32_e32 v136, vcc_lo, v94, v136, vcc_lo
	v_lshlrev_b64 v[141:142], 4, v[141:142]
	v_add_co_u32 v137, vcc_lo, v93, v137
	v_add_co_ci_u32_e32 v138, vcc_lo, v94, v138, vcc_lo
	v_add_co_u32 v139, vcc_lo, v93, v139
	v_mad_u64_u32 v[143:144], null, s8, v188, 0
	v_add_co_ci_u32_e32 v140, vcc_lo, v94, v140, vcc_lo
	v_add_co_u32 v141, vcc_lo, v93, v141
	v_mad_u64_u32 v[147:148], null, s8, v190, 0
	v_mov_b32_e32 v95, v146
	v_add_co_ci_u32_e32 v142, vcc_lo, v94, v142, vcc_lo
	v_mov_b32_e32 v150, v162
	v_mov_b32_e32 v92, v144
	;; [unrolled: 1-line block ×3, first 2 shown]
	s_waitcnt vmcnt(9)
	v_mul_f64 v[165:166], v[24:25], v[108:109]
	s_waitcnt vmcnt(7) lgkmcnt(2)
	v_mul_f64 v[170:171], v[36:37], v[119:120]
	s_waitcnt vmcnt(6) lgkmcnt(1)
	v_mul_f64 v[172:173], v[40:41], v[30:31]
	v_mul_f64 v[30:31], v[42:43], v[30:31]
	;; [unrolled: 1-line block ×5, first 2 shown]
	s_waitcnt vmcnt(4)
	v_mul_f64 v[178:179], v[60:61], v[121:122]
	v_mul_f64 v[121:122], v[62:63], v[121:122]
	s_waitcnt vmcnt(3)
	v_mul_f64 v[180:181], v[52:53], v[115:116]
	v_mul_f64 v[115:116], v[54:55], v[115:116]
	;; [unrolled: 1-line block ×3, first 2 shown]
	s_waitcnt vmcnt(2)
	v_mul_f64 v[182:183], v[56:57], v[117:118]
	v_mul_f64 v[117:118], v[58:59], v[117:118]
	s_waitcnt vmcnt(1)
	v_mul_f64 v[184:185], v[48:49], v[111:112]
	v_mul_f64 v[111:112], v[50:51], v[111:112]
	;; [unrolled: 1-line block ×3, first 2 shown]
	s_waitcnt vmcnt(0)
	v_mul_f64 v[186:187], v[44:45], v[104:105]
	v_mul_f64 v[104:105], v[46:47], v[104:105]
	;; [unrolled: 1-line block ×3, first 2 shown]
	v_fma_f64 v[26:27], v[82:83], v[26:27], v[165:166]
	v_fma_f64 v[38:39], v[12:13], v[38:39], v[170:171]
	v_fma_f64 v[42:43], v[2:3], v[42:43], v[172:173]
	v_fma_f64 v[30:31], v[2:3], v[40:41], -v[30:31]
	v_fma_f64 v[36:37], v[12:13], v[36:37], -v[119:120]
	;; [unrolled: 1-line block ×3, first 2 shown]
	v_fma_f64 v[82:83], v[18:19], v[22:23], v[174:175]
	v_fma_f64 v[22:23], v[14:15], v[62:63], v[178:179]
	v_fma_f64 v[14:15], v[14:15], v[60:61], -v[121:122]
	v_fma_f64 v[40:41], v[8:9], v[54:55], v[180:181]
	v_fma_f64 v[52:53], v[8:9], v[52:53], -v[115:116]
	v_fma_f64 v[34:35], v[6:7], v[34:35], v[176:177]
	v_fma_f64 v[54:55], v[10:11], v[58:59], v[182:183]
	v_fma_f64 v[56:57], v[10:11], v[56:57], -v[117:118]
	v_fma_f64 v[50:51], v[4:5], v[50:51], v[184:185]
	v_fma_f64 v[48:49], v[4:5], v[48:49], -v[111:112]
	v_fma_f64 v[58:59], v[6:7], v[32:33], -v[113:114]
	v_fma_f64 v[46:47], v[16:17], v[46:47], v[186:187]
	v_fma_f64 v[44:45], v[16:17], v[44:45], -v[104:105]
	v_fma_f64 v[60:61], v[18:19], v[20:21], -v[106:107]
	v_add_co_u32 v62, vcc_lo, v93, v152
	v_add_co_ci_u32_e32 v63, vcc_lo, v94, v153, vcc_lo
	v_add_co_u32 v104, vcc_lo, v93, v154
	v_mad_u64_u32 v[111:112], null, s9, v189, v[95:96]
	v_add_co_ci_u32_e32 v105, vcc_lo, v94, v155, vcc_lo
	v_add_co_u32 v106, vcc_lo, v93, v156
	v_add_co_ci_u32_e32 v107, vcc_lo, v94, v157, vcc_lo
	v_mad_u64_u32 v[108:109], null, s9, v188, v[92:93]
	v_add_co_u32 v109, vcc_lo, v93, v160
	v_add_f64 v[4:5], v[96:97], -v[26:27]
	s_waitcnt lgkmcnt(0)
	v_add_f64 v[12:13], v[168:169], -v[38:39]
	v_add_f64 v[8:9], v[28:29], -v[42:43]
	;; [unrolled: 1-line block ×5, first 2 shown]
	v_lshlrev_b64 v[26:27], 4, v[149:150]
	v_add_f64 v[16:17], v[102:103], -v[22:23]
	v_add_f64 v[14:15], v[80:81], -v[14:15]
	;; [unrolled: 1-line block ×14, first 2 shown]
	v_mad_u64_u32 v[112:113], null, s9, v190, v[110:111]
	v_add_co_ci_u32_e32 v110, vcc_lo, v94, v161, vcc_lo
	v_add_co_u32 v121, vcc_lo, v93, v26
	v_add_co_ci_u32_e32 v122, vcc_lo, v94, v27, vcc_lo
	v_mov_b32_e32 v152, v163
	v_mov_b32_e32 v146, v111
	;; [unrolled: 1-line block ×4, first 2 shown]
	v_lshlrev_b64 v[113:114], 4, v[158:159]
	v_lshlrev_b64 v[111:112], 4, v[151:152]
	;; [unrolled: 1-line block ×5, first 2 shown]
	v_fma_f64 v[48:49], v[96:97], 2.0, -v[4:5]
	v_fma_f64 v[52:53], v[168:169], 2.0, -v[12:13]
	;; [unrolled: 1-line block ×6, first 2 shown]
	v_add_co_u32 v0, vcc_lo, v93, v111
	v_fma_f64 v[56:57], v[102:103], 2.0, -v[16:17]
	v_fma_f64 v[54:55], v[80:81], 2.0, -v[14:15]
	;; [unrolled: 1-line block ×14, first 2 shown]
	v_add_co_ci_u32_e32 v1, vcc_lo, v94, v112, vcc_lo
	v_add_co_u32 v68, vcc_lo, v93, v113
	v_add_co_ci_u32_e32 v69, vcc_lo, v94, v114, vcc_lo
	v_add_co_u32 v70, vcc_lo, v93, v115
	;; [unrolled: 2-line block ×4, first 2 shown]
	v_add_co_ci_u32_e32 v91, vcc_lo, v94, v120, vcc_lo
	s_clause 0x13
	global_store_b128 v[123:124], v[26:29], off
	global_store_b128 v[125:126], v[6:9], off
	;; [unrolled: 1-line block ×20, first 2 shown]
.LBB0_15:
	s_nop 0
	s_sendmsg sendmsg(MSG_DEALLOC_VGPRS)
	s_endpgm
	.section	.rodata,"a",@progbits
	.p2align	6, 0x0
	.amdhsa_kernel fft_rtc_fwd_len3200_factors_10_10_4_4_2_wgs_160_tpt_160_halfLds_dp_ip_CI_sbrr_dirReg
		.amdhsa_group_segment_fixed_size 0
		.amdhsa_private_segment_fixed_size 0
		.amdhsa_kernarg_size 88
		.amdhsa_user_sgpr_count 15
		.amdhsa_user_sgpr_dispatch_ptr 0
		.amdhsa_user_sgpr_queue_ptr 0
		.amdhsa_user_sgpr_kernarg_segment_ptr 1
		.amdhsa_user_sgpr_dispatch_id 0
		.amdhsa_user_sgpr_private_segment_size 0
		.amdhsa_wavefront_size32 1
		.amdhsa_uses_dynamic_stack 0
		.amdhsa_enable_private_segment 0
		.amdhsa_system_sgpr_workgroup_id_x 1
		.amdhsa_system_sgpr_workgroup_id_y 0
		.amdhsa_system_sgpr_workgroup_id_z 0
		.amdhsa_system_sgpr_workgroup_info 0
		.amdhsa_system_vgpr_workitem_id 0
		.amdhsa_next_free_vgpr 211
		.amdhsa_next_free_sgpr 23
		.amdhsa_reserve_vcc 1
		.amdhsa_float_round_mode_32 0
		.amdhsa_float_round_mode_16_64 0
		.amdhsa_float_denorm_mode_32 3
		.amdhsa_float_denorm_mode_16_64 3
		.amdhsa_dx10_clamp 1
		.amdhsa_ieee_mode 1
		.amdhsa_fp16_overflow 0
		.amdhsa_workgroup_processor_mode 1
		.amdhsa_memory_ordered 1
		.amdhsa_forward_progress 0
		.amdhsa_shared_vgpr_count 0
		.amdhsa_exception_fp_ieee_invalid_op 0
		.amdhsa_exception_fp_denorm_src 0
		.amdhsa_exception_fp_ieee_div_zero 0
		.amdhsa_exception_fp_ieee_overflow 0
		.amdhsa_exception_fp_ieee_underflow 0
		.amdhsa_exception_fp_ieee_inexact 0
		.amdhsa_exception_int_div_zero 0
	.end_amdhsa_kernel
	.text
.Lfunc_end0:
	.size	fft_rtc_fwd_len3200_factors_10_10_4_4_2_wgs_160_tpt_160_halfLds_dp_ip_CI_sbrr_dirReg, .Lfunc_end0-fft_rtc_fwd_len3200_factors_10_10_4_4_2_wgs_160_tpt_160_halfLds_dp_ip_CI_sbrr_dirReg
                                        ; -- End function
	.section	.AMDGPU.csdata,"",@progbits
; Kernel info:
; codeLenInByte = 16612
; NumSgprs: 25
; NumVgprs: 211
; ScratchSize: 0
; MemoryBound: 1
; FloatMode: 240
; IeeeMode: 1
; LDSByteSize: 0 bytes/workgroup (compile time only)
; SGPRBlocks: 3
; VGPRBlocks: 26
; NumSGPRsForWavesPerEU: 25
; NumVGPRsForWavesPerEU: 211
; Occupancy: 7
; WaveLimiterHint : 1
; COMPUTE_PGM_RSRC2:SCRATCH_EN: 0
; COMPUTE_PGM_RSRC2:USER_SGPR: 15
; COMPUTE_PGM_RSRC2:TRAP_HANDLER: 0
; COMPUTE_PGM_RSRC2:TGID_X_EN: 1
; COMPUTE_PGM_RSRC2:TGID_Y_EN: 0
; COMPUTE_PGM_RSRC2:TGID_Z_EN: 0
; COMPUTE_PGM_RSRC2:TIDIG_COMP_CNT: 0
	.text
	.p2alignl 7, 3214868480
	.fill 96, 4, 3214868480
	.type	__hip_cuid_47be4725e0ddea68,@object ; @__hip_cuid_47be4725e0ddea68
	.section	.bss,"aw",@nobits
	.globl	__hip_cuid_47be4725e0ddea68
__hip_cuid_47be4725e0ddea68:
	.byte	0                               ; 0x0
	.size	__hip_cuid_47be4725e0ddea68, 1

	.ident	"AMD clang version 19.0.0git (https://github.com/RadeonOpenCompute/llvm-project roc-6.4.0 25133 c7fe45cf4b819c5991fe208aaa96edf142730f1d)"
	.section	".note.GNU-stack","",@progbits
	.addrsig
	.addrsig_sym __hip_cuid_47be4725e0ddea68
	.amdgpu_metadata
---
amdhsa.kernels:
  - .args:
      - .actual_access:  read_only
        .address_space:  global
        .offset:         0
        .size:           8
        .value_kind:     global_buffer
      - .offset:         8
        .size:           8
        .value_kind:     by_value
      - .actual_access:  read_only
        .address_space:  global
        .offset:         16
        .size:           8
        .value_kind:     global_buffer
      - .actual_access:  read_only
        .address_space:  global
        .offset:         24
        .size:           8
        .value_kind:     global_buffer
      - .offset:         32
        .size:           8
        .value_kind:     by_value
      - .actual_access:  read_only
        .address_space:  global
        .offset:         40
        .size:           8
        .value_kind:     global_buffer
      - .actual_access:  read_only
        .address_space:  global
        .offset:         48
        .size:           8
        .value_kind:     global_buffer
      - .offset:         56
        .size:           4
        .value_kind:     by_value
      - .actual_access:  read_only
        .address_space:  global
        .offset:         64
        .size:           8
        .value_kind:     global_buffer
      - .actual_access:  read_only
        .address_space:  global
        .offset:         72
        .size:           8
        .value_kind:     global_buffer
      - .address_space:  global
        .offset:         80
        .size:           8
        .value_kind:     global_buffer
    .group_segment_fixed_size: 0
    .kernarg_segment_align: 8
    .kernarg_segment_size: 88
    .language:       OpenCL C
    .language_version:
      - 2
      - 0
    .max_flat_workgroup_size: 160
    .name:           fft_rtc_fwd_len3200_factors_10_10_4_4_2_wgs_160_tpt_160_halfLds_dp_ip_CI_sbrr_dirReg
    .private_segment_fixed_size: 0
    .sgpr_count:     25
    .sgpr_spill_count: 0
    .symbol:         fft_rtc_fwd_len3200_factors_10_10_4_4_2_wgs_160_tpt_160_halfLds_dp_ip_CI_sbrr_dirReg.kd
    .uniform_work_group_size: 1
    .uses_dynamic_stack: false
    .vgpr_count:     211
    .vgpr_spill_count: 0
    .wavefront_size: 32
    .workgroup_processor_mode: 1
amdhsa.target:   amdgcn-amd-amdhsa--gfx1100
amdhsa.version:
  - 1
  - 2
...

	.end_amdgpu_metadata
